;; amdgpu-corpus repo=ROCm/rocFFT kind=compiled arch=gfx1201 opt=O3
	.text
	.amdgcn_target "amdgcn-amd-amdhsa--gfx1201"
	.amdhsa_code_object_version 6
	.protected	bluestein_single_fwd_len1600_dim1_sp_op_CI_CI ; -- Begin function bluestein_single_fwd_len1600_dim1_sp_op_CI_CI
	.globl	bluestein_single_fwd_len1600_dim1_sp_op_CI_CI
	.p2align	8
	.type	bluestein_single_fwd_len1600_dim1_sp_op_CI_CI,@function
bluestein_single_fwd_len1600_dim1_sp_op_CI_CI: ; @bluestein_single_fwd_len1600_dim1_sp_op_CI_CI
; %bb.0:
	s_load_b128 s[12:15], s[0:1], 0x28
	v_mul_u32_u24_e32 v1, 0x290, v0
	v_mov_b32_e32 v103, 0
	s_mov_b32 s2, exec_lo
	s_delay_alu instid0(VALU_DEP_2) | instskip(NEXT) | instid1(VALU_DEP_1)
	v_lshrrev_b32_e32 v2, 16, v1
	v_lshl_add_u32 v102, ttmp9, 1, v2
	s_wait_kmcnt 0x0
	s_delay_alu instid0(VALU_DEP_1)
	v_cmpx_gt_u64_e64 s[12:13], v[102:103]
	s_cbranch_execz .LBB0_23
; %bb.1:
	s_clause 0x1
	s_load_b128 s[4:7], s[0:1], 0x18
	s_load_b64 s[12:13], s[0:1], 0x0
	v_mul_lo_u16 v1, 0x64, v2
	s_delay_alu instid0(VALU_DEP_1)
	v_sub_nc_u16 v31, v0, v1
	s_wait_kmcnt 0x0
	s_load_b128 s[8:11], s[4:5], 0x0
	s_wait_kmcnt 0x0
	v_mad_co_u64_u32 v[0:1], null, s10, v102, 0
	s_mul_u64 s[2:3], s[8:9], 0xa0
	s_delay_alu instid0(SALU_CYCLE_1) | instskip(SKIP_1) | instid1(VALU_DEP_1)
	s_lshl_b64 s[16:17], s[2:3], 3
	s_mul_i32 s2, s9, 0xa00
	v_mad_co_u64_u32 v[5:6], null, s11, v102, v[1:2]
	v_and_b32_e32 v130, 0xffff, v31
	s_load_b64 s[10:11], s[0:1], 0x38
	s_delay_alu instid0(VALU_DEP_2) | instskip(NEXT) | instid1(VALU_DEP_2)
	v_mov_b32_e32 v1, v5
	v_mad_co_u64_u32 v[3:4], null, s8, v130, 0
	v_or_b32_e32 v131, 0x280, v130
	v_or_b32_e32 v132, 0x500, v130
	s_delay_alu instid0(VALU_DEP_4) | instskip(NEXT) | instid1(VALU_DEP_2)
	v_lshlrev_b64_e32 v[0:1], 3, v[0:1]
	v_mad_co_u64_u32 v[9:10], null, s8, v132, 0
	v_mad_co_u64_u32 v[6:7], null, s9, v130, v[4:5]
	;; [unrolled: 1-line block ×3, first 2 shown]
	v_lshlrev_b32_e32 v25, 3, v130
	v_add_co_u32 v19, vcc_lo, s14, v0
	v_add_co_ci_u32_e32 v20, vcc_lo, s15, v1, vcc_lo
	s_delay_alu instid0(VALU_DEP_4)
	v_dual_mov_b32 v4, v6 :: v_dual_mov_b32 v5, v8
	v_mov_b32_e32 v6, v10
	s_clause 0x4
	global_load_b64 v[121:122], v25, s[12:13]
	global_load_b64 v[119:120], v25, s[12:13] offset:1280
	global_load_b64 v[117:118], v25, s[12:13] offset:2560
	;; [unrolled: 1-line block ×4, first 2 shown]
	v_lshlrev_b64_e32 v[3:4], 3, v[3:4]
	v_mad_co_u64_u32 v[0:1], null, s9, v132, v[6:7]
	v_mad_co_u64_u32 v[5:6], null, s9, v131, v[5:6]
	s_delay_alu instid0(VALU_DEP_3) | instskip(SKIP_1) | instid1(VALU_DEP_4)
	v_add_co_u32 v3, vcc_lo, v19, v3
	s_wait_alu 0xfffd
	v_add_co_ci_u32_e32 v4, vcc_lo, v20, v4, vcc_lo
	s_delay_alu instid0(VALU_DEP_4) | instskip(NEXT) | instid1(VALU_DEP_3)
	v_mov_b32_e32 v10, v0
	v_add_co_u32 v11, vcc_lo, v3, s16
	s_wait_alu 0xfffd
	s_delay_alu instid0(VALU_DEP_3) | instskip(NEXT) | instid1(VALU_DEP_3)
	v_add_co_ci_u32_e32 v12, vcc_lo, s17, v4, vcc_lo
	v_lshlrev_b64_e32 v[9:10], 3, v[9:10]
	s_delay_alu instid0(VALU_DEP_3) | instskip(SKIP_1) | instid1(VALU_DEP_3)
	v_add_co_u32 v0, vcc_lo, v11, s16
	s_wait_alu 0xfffd
	v_add_co_ci_u32_e32 v1, vcc_lo, s17, v12, vcc_lo
	v_mov_b32_e32 v8, v5
	s_delay_alu instid0(VALU_DEP_3) | instskip(SKIP_1) | instid1(VALU_DEP_3)
	v_add_co_u32 v13, vcc_lo, v0, s16
	s_wait_alu 0xfffd
	v_add_co_ci_u32_e32 v14, vcc_lo, s17, v1, vcc_lo
	v_add_co_u32 v9, vcc_lo, v19, v9
	s_wait_alu 0xfffd
	v_add_co_ci_u32_e32 v10, vcc_lo, v20, v10, vcc_lo
	s_clause 0x1
	global_load_b64 v[15:16], v[3:4], off
	global_load_b64 v[9:10], v[9:10], off
	v_mad_co_u64_u32 v[5:6], null, 0xa00, s8, v[13:14]
	s_clause 0x1
	global_load_b64 v[11:12], v[11:12], off
	global_load_b64 v[17:18], v[0:1], off
	v_lshlrev_b64_e32 v[7:8], 3, v[7:8]
	v_and_b32_e32 v2, 1, v2
	v_add_nc_u32_e32 v6, s2, v6
	v_add_co_u32 v3, vcc_lo, v5, s16
	s_wait_loadcnt 0x2
	v_dual_mul_f32 v26, v15, v122 :: v_dual_mul_f32 v27, v10, v104
	s_wait_alu 0xfffd
	v_add_co_ci_u32_e32 v4, vcc_lo, s17, v6, vcc_lo
	v_add_co_u32 v0, vcc_lo, v19, v7
	s_wait_alu 0xfffd
	v_add_co_ci_u32_e32 v1, vcc_lo, v20, v8, vcc_lo
	v_add_co_u32 v7, vcc_lo, v3, s16
	s_wait_alu 0xfffd
	v_add_co_ci_u32_e32 v8, vcc_lo, s17, v4, vcc_lo
	s_clause 0x1
	global_load_b64 v[13:14], v[13:14], off
	global_load_b64 v[19:20], v[0:1], off
	global_load_b64 v[105:106], v25, s[12:13] offset:5120
	global_load_b64 v[5:6], v[5:6], off
	global_load_b64 v[113:114], v25, s[12:13] offset:6400
	;; [unrolled: 2-line block ×3, first 2 shown]
	s_wait_loadcnt 0x8
	v_mul_f32_e32 v29, v12, v120
	v_mad_co_u64_u32 v[0:1], null, 0xa00, s8, v[7:8]
	v_cmp_eq_u32_e32 vcc_lo, 1, v2
	v_mul_f32_e32 v28, v11, v120
	v_fma_f32 v26, v16, v121, -v26
	v_fmac_f32_e32 v29, v11, v119
	s_wait_loadcnt 0x7
	v_mul_f32_e32 v11, v18, v118
	s_wait_alu 0xfffd
	v_cndmask_b32_e64 v133, 0, 0x3200, vcc_lo
	v_add_nc_u32_e32 v1, s2, v1
	global_load_b64 v[111:112], v25, s[12:13] offset:8960
	global_load_b64 v[7:8], v[7:8], off
	global_load_b64 v[107:108], v25, s[12:13] offset:11520
	global_load_b64 v[23:24], v[0:1], off
	v_add_co_u32 v100, s2, s12, v25
	v_add_nc_u32_e32 v129, v133, v25
	v_dual_mul_f32 v25, v16, v122 :: v_dual_mul_f32 v32, v9, v104
	v_fma_f32 v30, v12, v119, -v28
	s_load_b128 s[4:7], s[6:7], 0x0
	s_delay_alu instid0(VALU_DEP_3)
	v_add_nc_u32_e32 v4, 0x800, v129
	v_add_nc_u32_e32 v2, 0x1c00, v129
	v_fmac_f32_e32 v25, v15, v121
	v_fma_f32 v28, v10, v103, -v32
	v_mul_f32_e32 v10, v17, v118
	v_fmac_f32_e32 v27, v9, v103
	v_fmac_f32_e32 v11, v17, v117
	v_add_co_ci_u32_e64 v101, null, s13, 0, s2
	v_add_nc_u32_e32 v3, 0x1400, v129
	v_cmp_gt_u16_e32 vcc_lo, 60, v31
	ds_store_2addr_b64 v129, v[25:26], v[29:30] offset1:160
	s_wait_loadcnt 0xa
	v_mul_f32_e32 v16, v13, v116
	v_mul_f32_e32 v9, v14, v116
	s_wait_loadcnt 0x8
	v_mul_f32_e32 v15, v20, v106
	v_fma_f32 v12, v18, v117, -v10
	v_mul_f32_e32 v18, v19, v106
	v_fma_f32 v10, v14, v115, -v16
	s_wait_loadcnt 0x6
	v_dual_mul_f32 v14, v5, v114 :: v_dual_fmac_f32 v15, v19, v105
	v_fmac_f32_e32 v9, v13, v115
	v_mul_f32_e32 v13, v6, v114
	s_wait_loadcnt 0x4
	v_mul_f32_e32 v17, v22, v110
	v_fma_f32 v14, v6, v113, -v14
	v_fma_f32 v16, v20, v105, -v18
	s_wait_loadcnt 0x2
	v_mul_f32_e32 v6, v8, v112
	v_dual_mul_f32 v20, v7, v112 :: v_dual_fmac_f32 v17, v21, v109
	s_wait_loadcnt 0x0
	s_delay_alu instid0(VALU_DEP_2)
	v_dual_mul_f32 v19, v24, v108 :: v_dual_fmac_f32 v6, v7, v111
	v_fmac_f32_e32 v13, v5, v113
	v_mul_f32_e32 v5, v21, v110
	v_mul_f32_e32 v21, v23, v108
	v_fma_f32 v7, v8, v111, -v20
	v_fmac_f32_e32 v19, v23, v107
	s_delay_alu instid0(VALU_DEP_4)
	v_fma_f32 v18, v22, v109, -v5
	v_add_nc_u32_e32 v5, 0x2800, v129
	v_fma_f32 v20, v24, v107, -v21
	ds_store_2addr_b64 v4, v[11:12], v[9:10] offset0:64 offset1:224
	ds_store_2addr_b64 v3, v[15:16], v[13:14] offset1:160
	ds_store_2addr_b64 v2, v[17:18], v[6:7] offset0:64 offset1:224
	ds_store_2addr_b64 v5, v[27:28], v[19:20] offset1:160
	s_and_saveexec_b32 s3, vcc_lo
	s_cbranch_execz .LBB0_3
; %bb.2:
	v_mad_co_u64_u32 v[0:1], null, 0xffffd620, s8, v[0:1]
	s_mul_i32 s2, s9, 0xffffd620
	s_clause 0x3
	global_load_b64 v[6:7], v[100:101], off offset:800
	global_load_b64 v[8:9], v[100:101], off offset:2080
	;; [unrolled: 1-line block ×4, first 2 shown]
	s_wait_alu 0xfffe
	s_sub_co_i32 s2, s2, s8
	global_load_b64 v[16:17], v[100:101], off offset:5920
	s_wait_alu 0xfffe
	v_add_nc_u32_e32 v1, s2, v1
	v_add_co_u32 v14, s2, v0, s16
	s_wait_alu 0xf1ff
	s_delay_alu instid0(VALU_DEP_2) | instskip(NEXT) | instid1(VALU_DEP_2)
	v_add_co_ci_u32_e64 v15, s2, s17, v1, s2
	v_add_co_u32 v18, s2, v14, s16
	global_load_b64 v[0:1], v[0:1], off
	s_wait_alu 0xf1ff
	v_add_co_ci_u32_e64 v19, s2, s17, v15, s2
	v_add_co_u32 v20, s2, v18, s16
	global_load_b64 v[14:15], v[14:15], off
	s_wait_alu 0xf1ff
	;; [unrolled: 4-line block ×5, first 2 shown]
	v_add_co_ci_u32_e64 v27, s2, s17, v25, s2
	v_add_co_u32 v28, s2, v26, s16
	v_add_nc_u32_e32 v46, 0x200, v129
	s_wait_alu 0xf1ff
	s_delay_alu instid0(VALU_DEP_3)
	v_add_co_ci_u32_e64 v29, s2, s17, v27, s2
	s_clause 0x1
	global_load_b64 v[30:31], v[100:101], off offset:7200
	global_load_b64 v[32:33], v[100:101], off offset:8480
	global_load_b64 v[24:25], v[24:25], off
	global_load_b64 v[26:27], v[26:27], off
	;; [unrolled: 1-line block ×3, first 2 shown]
	v_add_co_u32 v28, s2, v28, s16
	s_wait_alu 0xf1ff
	v_add_co_ci_u32_e64 v29, s2, s17, v29, s2
	global_load_b64 v[36:37], v[100:101], off offset:9760
	v_add_co_u32 v38, s2, v28, s16
	s_wait_alu 0xf1ff
	v_add_co_ci_u32_e64 v39, s2, s17, v29, s2
	global_load_b64 v[28:29], v[28:29], off
	s_clause 0x1
	global_load_b64 v[40:41], v[100:101], off offset:11040
	global_load_b64 v[42:43], v[100:101], off offset:12320
	global_load_b64 v[38:39], v[38:39], off
	v_add_nc_u32_e32 v47, 0xc00, v129
	s_wait_loadcnt 0xe
	v_dual_mul_f32 v44, v1, v7 :: v_dual_add_nc_u32 v49, 0x2000, v129
	v_mul_f32_e32 v45, v0, v7
	s_delay_alu instid0(VALU_DEP_2) | instskip(NEXT) | instid1(VALU_DEP_2)
	v_fmac_f32_e32 v44, v0, v6
	v_fma_f32 v45, v1, v6, -v45
	s_wait_loadcnt 0xc
	v_mul_f32_e32 v0, v19, v11
	v_mul_f32_e32 v7, v15, v9
	;; [unrolled: 1-line block ×3, first 2 shown]
	s_wait_loadcnt 0xb
	v_dual_mul_f32 v1, v18, v11 :: v_dual_mul_f32 v6, v20, v13
	v_fmac_f32_e32 v0, v18, v10
	v_dual_fmac_f32 v7, v14, v8 :: v_dual_add_nc_u32 v48, 0x1600, v129
	s_delay_alu instid0(VALU_DEP_3) | instskip(SKIP_4) | instid1(VALU_DEP_2)
	v_fma_f32 v1, v19, v10, -v1
	s_wait_loadcnt 0xa
	v_mul_f32_e32 v11, v23, v17
	v_fma_f32 v10, v21, v12, -v6
	s_wait_loadcnt 0x7
	v_dual_fmac_f32 v11, v22, v16 :: v_dual_mul_f32 v6, v24, v31
	v_fma_f32 v8, v15, v8, -v9
	v_mul_f32_e32 v9, v21, v13
	v_dual_mul_f32 v14, v22, v17 :: v_dual_mul_f32 v13, v25, v31
	s_wait_loadcnt 0x6
	v_mul_f32_e32 v15, v27, v33
	s_wait_loadcnt 0x4
	v_mul_f32_e32 v17, v35, v37
	s_delay_alu instid0(VALU_DEP_2)
	v_fmac_f32_e32 v15, v26, v32
	s_wait_loadcnt 0x0
	v_dual_mul_f32 v19, v29, v41 :: v_dual_mul_f32 v22, v38, v43
	v_fmac_f32_e32 v9, v20, v12
	v_fma_f32 v12, v23, v16, -v14
	v_dual_mul_f32 v16, v26, v33 :: v_dual_fmac_f32 v13, v24, v30
	v_fma_f32 v14, v25, v30, -v6
	v_mul_f32_e32 v6, v34, v37
	v_dual_mul_f32 v20, v28, v41 :: v_dual_mul_f32 v21, v39, v43
	s_delay_alu instid0(VALU_DEP_4) | instskip(SKIP_1) | instid1(VALU_DEP_4)
	v_fma_f32 v16, v27, v32, -v16
	v_fmac_f32_e32 v17, v34, v36
	v_fma_f32 v18, v35, v36, -v6
	v_fmac_f32_e32 v19, v28, v40
	v_fma_f32 v20, v29, v40, -v20
	v_fmac_f32_e32 v21, v38, v42
	v_fma_f32 v22, v39, v42, -v22
	v_add_nc_u32_e32 v6, 0x2a00, v129
	ds_store_2addr_b64 v46, v[44:45], v[7:8] offset0:36 offset1:196
	ds_store_2addr_b64 v47, v[0:1], v[9:10] offset0:36 offset1:196
	;; [unrolled: 1-line block ×5, first 2 shown]
.LBB0_3:
	s_wait_alu 0xfffe
	s_or_b32 exec_lo, exec_lo, s3
	global_wb scope:SCOPE_SE
	s_wait_dscnt 0x0
	s_wait_kmcnt 0x0
	s_barrier_signal -1
	s_barrier_wait -1
	global_inv scope:SCOPE_SE
	ds_load_2addr_b64 v[20:23], v129 offset1:160
	ds_load_2addr_b64 v[28:31], v4 offset0:64 offset1:224
	ds_load_2addr_b64 v[32:35], v3 offset1:160
	ds_load_2addr_b64 v[36:39], v2 offset0:64 offset1:224
	ds_load_2addr_b64 v[24:27], v5 offset1:160
                                        ; implicit-def: $vgpr6
                                        ; implicit-def: $vgpr0
                                        ; implicit-def: $vgpr8
                                        ; implicit-def: $vgpr14
                                        ; implicit-def: $vgpr18
	s_and_saveexec_b32 s2, vcc_lo
	s_cbranch_execz .LBB0_5
; %bb.4:
	v_add_nc_u32_e32 v0, 0x200, v129
	v_add_nc_u32_e32 v1, 0xc00, v129
	;; [unrolled: 1-line block ×5, first 2 shown]
	ds_load_2addr_b64 v[16:19], v0 offset0:36 offset1:196
	ds_load_2addr_b64 v[12:15], v1 offset0:36 offset1:196
	;; [unrolled: 1-line block ×5, first 2 shown]
.LBB0_5:
	s_wait_alu 0xfffe
	s_or_b32 exec_lo, exec_lo, s2
	s_wait_dscnt 0x1
	v_dual_add_f32 v40, v32, v36 :: v_dual_sub_f32 v43, v33, v37
	s_wait_dscnt 0x0
	v_dual_add_f32 v41, v20, v28 :: v_dual_sub_f32 v42, v29, v25
	v_sub_f32_e32 v59, v6, v2
	s_delay_alu instid0(VALU_DEP_3)
	v_fma_f32 v47, -0.5, v40, v20
	v_sub_f32_e32 v40, v28, v32
	v_add_f32_e32 v45, v28, v24
	v_sub_f32_e32 v61, v11, v3
	s_load_b64 s[0:1], s[0:1], 0x8
	v_dual_fmamk_f32 v48, v42, 0x3f737871, v47 :: v_dual_add_f32 v41, v41, v32
	v_dual_fmac_f32 v47, 0xbf737871, v42 :: v_dual_sub_f32 v44, v24, v36
	v_fma_f32 v49, -0.5, v45, v20
	s_delay_alu instid0(VALU_DEP_3) | instskip(NEXT) | instid1(VALU_DEP_3)
	v_fmac_f32_e32 v48, 0x3f167918, v43
	v_dual_add_f32 v20, v41, v36 :: v_dual_fmac_f32 v47, 0xbf167918, v43
	s_delay_alu instid0(VALU_DEP_4) | instskip(SKIP_2) | instid1(VALU_DEP_4)
	v_dual_add_f32 v40, v40, v44 :: v_dual_add_f32 v45, v21, v29
	v_add_f32_e32 v46, v33, v37
	v_dual_fmamk_f32 v50, v43, 0xbf737871, v49 :: v_dual_sub_f32 v41, v32, v28
	v_dual_fmac_f32 v49, 0x3f737871, v43 :: v_dual_add_f32 v20, v20, v24
	s_delay_alu instid0(VALU_DEP_4)
	v_dual_add_f32 v43, v45, v33 :: v_dual_sub_f32 v44, v36, v24
	v_sub_f32_e32 v24, v28, v24
	v_fmac_f32_e32 v47, 0x3e9e377a, v40
	v_fma_f32 v55, -0.5, v46, v21
	v_fmac_f32_e32 v49, 0xbf167918, v42
	v_dual_fmac_f32 v50, 0x3f167918, v42 :: v_dual_add_f32 v41, v41, v44
	v_fmac_f32_e32 v48, 0x3e9e377a, v40
	v_sub_f32_e32 v32, v32, v36
	v_add_f32_e32 v40, v29, v25
	v_sub_f32_e32 v36, v29, v33
	v_sub_f32_e32 v29, v33, v29
	v_dual_add_f32 v28, v43, v37 :: v_dual_fmamk_f32 v51, v24, 0xbf737871, v55
	v_dual_fmac_f32 v55, 0x3f737871, v24 :: v_dual_sub_f32 v42, v25, v37
	v_add_f32_e32 v33, v34, v38
	v_fmac_f32_e32 v49, 0x3e9e377a, v41
	s_delay_alu instid0(VALU_DEP_4) | instskip(SKIP_4) | instid1(VALU_DEP_4)
	v_fmac_f32_e32 v51, 0xbf167918, v32
	v_fma_f32 v53, -0.5, v40, v21
	v_add_f32_e32 v21, v28, v25
	v_sub_f32_e32 v25, v37, v25
	v_dual_fmac_f32 v55, 0x3f167918, v32 :: v_dual_add_f32 v28, v36, v42
	v_fmamk_f32 v56, v32, 0x3f737871, v53
	s_delay_alu instid0(VALU_DEP_3) | instskip(NEXT) | instid1(VALU_DEP_3)
	v_dual_sub_f32 v36, v35, v39 :: v_dual_add_f32 v25, v29, v25
	v_dual_fmac_f32 v50, 0x3e9e377a, v41 :: v_dual_fmac_f32 v51, 0x3e9e377a, v28
	s_delay_alu instid0(VALU_DEP_3) | instskip(SKIP_2) | instid1(VALU_DEP_3)
	v_dual_fmac_f32 v56, 0xbf167918, v24 :: v_dual_add_f32 v29, v22, v30
	v_dual_fmac_f32 v55, 0x3e9e377a, v28 :: v_dual_sub_f32 v40, v26, v38
	v_add_co_u32 v123, null, 0x64, v130
	v_fmac_f32_e32 v56, 0x3e9e377a, v25
	v_fmac_f32_e32 v53, 0xbf737871, v32
	v_fma_f32 v32, -0.5, v33, v22
	v_sub_f32_e32 v33, v31, v27
	v_mul_u32_u24_e32 v134, 10, v123
	global_wb scope:SCOPE_SE
	v_dual_fmac_f32 v53, 0x3f167918, v24 :: v_dual_add_f32 v24, v29, v34
	v_dual_fmamk_f32 v28, v33, 0x3f737871, v32 :: v_dual_add_f32 v29, v30, v26
	v_dual_sub_f32 v37, v30, v34 :: v_dual_fmac_f32 v32, 0xbf737871, v33
	s_delay_alu instid0(VALU_DEP_3) | instskip(NEXT) | instid1(VALU_DEP_3)
	v_add_f32_e32 v24, v24, v38
	v_fmac_f32_e32 v28, 0x3f167918, v36
	v_fmac_f32_e32 v53, 0x3e9e377a, v25
	v_fma_f32 v22, -0.5, v29, v22
	v_add_f32_e32 v25, v37, v40
	v_dual_sub_f32 v37, v34, v30 :: v_dual_fmac_f32 v32, 0xbf167918, v36
	s_delay_alu instid0(VALU_DEP_3) | instskip(SKIP_1) | instid1(VALU_DEP_4)
	v_dual_sub_f32 v40, v38, v26 :: v_dual_fmamk_f32 v29, v36, 0xbf737871, v22
	v_fmac_f32_e32 v22, 0x3f737871, v36
	v_fmac_f32_e32 v28, 0x3e9e377a, v25
	s_delay_alu instid0(VALU_DEP_3) | instskip(SKIP_3) | instid1(VALU_DEP_3)
	v_dual_fmac_f32 v32, 0x3e9e377a, v25 :: v_dual_add_f32 v37, v37, v40
	v_add_f32_e32 v25, v23, v31
	v_add_f32_e32 v36, v35, v39
	v_dual_add_f32 v24, v24, v26 :: v_dual_fmac_f32 v29, 0x3f167918, v33
	v_dual_fmac_f32 v22, 0xbf167918, v33 :: v_dual_add_f32 v25, v25, v35
	v_add_f32_e32 v33, v31, v27
	s_delay_alu instid0(VALU_DEP_4) | instskip(NEXT) | instid1(VALU_DEP_4)
	v_fma_f32 v41, -0.5, v36, v23
	v_dual_fmac_f32 v29, 0x3e9e377a, v37 :: v_dual_sub_f32 v26, v30, v26
	s_delay_alu instid0(VALU_DEP_3) | instskip(SKIP_1) | instid1(VALU_DEP_3)
	v_dual_sub_f32 v30, v34, v38 :: v_dual_fmac_f32 v23, -0.5, v33
	v_dual_fmac_f32 v22, 0x3e9e377a, v37 :: v_dual_add_f32 v25, v25, v39
	v_dual_fmamk_f32 v33, v26, 0xbf737871, v41 :: v_dual_sub_f32 v34, v31, v35
	s_delay_alu instid0(VALU_DEP_3) | instskip(SKIP_2) | instid1(VALU_DEP_4)
	v_dual_fmamk_f32 v37, v30, 0x3f737871, v23 :: v_dual_sub_f32 v36, v27, v39
	v_sub_f32_e32 v31, v35, v31
	v_sub_f32_e32 v35, v39, v27
	v_fmac_f32_e32 v33, 0xbf167918, v30
	s_delay_alu instid0(VALU_DEP_4) | instskip(SKIP_2) | instid1(VALU_DEP_3)
	v_dual_fmac_f32 v23, 0xbf737871, v30 :: v_dual_add_f32 v34, v34, v36
	v_fmac_f32_e32 v37, 0xbf167918, v26
	v_dual_fmac_f32 v41, 0x3f737871, v26 :: v_dual_add_f32 v36, v20, v24
	v_dual_fmac_f32 v23, 0x3f167918, v26 :: v_dual_sub_f32 v46, v20, v24
	s_delay_alu instid0(VALU_DEP_4) | instskip(SKIP_4) | instid1(VALU_DEP_4)
	v_fmac_f32_e32 v33, 0x3e9e377a, v34
	v_dual_mul_f32 v26, 0x3f4f1bbd, v28 :: v_dual_add_f32 v31, v31, v35
	v_add_f32_e32 v25, v25, v27
	v_fmac_f32_e32 v41, 0x3f167918, v30
	v_mul_f32_e32 v30, 0x3e9e377a, v22
	v_fmac_f32_e32 v26, 0x3f167918, v33
	v_fmac_f32_e32 v37, 0x3e9e377a, v31
	;; [unrolled: 1-line block ×3, first 2 shown]
	v_mul_f32_e32 v28, 0xbf167918, v28
	v_sub_f32_e32 v24, v12, v4
	s_delay_alu instid0(VALU_DEP_4)
	v_dual_add_f32 v38, v48, v26 :: v_dual_mul_f32 v27, 0x3f737871, v37
	v_sub_f32_e32 v48, v48, v26
	v_fma_f32 v30, 0x3f737871, v23, -v30
	v_sub_f32_e32 v26, v13, v9
	s_wait_kmcnt 0x0
	s_barrier_signal -1
	v_fmac_f32_e32 v27, 0x3e9e377a, v29
	v_dual_mul_f32 v29, 0xbf737871, v29 :: v_dual_sub_f32 v52, v49, v30
	v_dual_add_f32 v42, v49, v30 :: v_dual_mul_f32 v23, 0x3e9e377a, v23
	s_delay_alu instid0(VALU_DEP_3)
	v_add_f32_e32 v40, v50, v27
	v_dual_sub_f32 v50, v50, v27 :: v_dual_fmac_f32 v41, 0x3e9e377a, v34
	v_mul_f32_e32 v31, 0x3f4f1bbd, v32
	v_fmac_f32_e32 v29, 0x3e9e377a, v37
	v_add_f32_e32 v37, v21, v25
	v_fmac_f32_e32 v28, 0x3f4f1bbd, v33
	v_sub_f32_e32 v30, v12, v8
	v_fma_f32 v31, 0x3f167918, v41, -v31
	v_sub_f32_e32 v33, v14, v6
	s_barrier_wait -1
	v_add_f32_e32 v39, v51, v28
	v_sub_f32_e32 v49, v51, v28
	v_sub_f32_e32 v54, v47, v31
	v_mul_f32_e32 v34, 0x3f4f1bbd, v41
	v_add_f32_e32 v28, v8, v12
	v_fma_f32 v22, 0xbf737871, v22, -v23
	v_dual_add_f32 v44, v47, v31 :: v_dual_sub_f32 v47, v21, v25
	s_delay_alu instid0(VALU_DEP_4) | instskip(NEXT) | instid1(VALU_DEP_3)
	v_fma_f32 v23, 0xbf167918, v32, -v34
	v_dual_add_f32 v32, v0, v4 :: v_dual_add_f32 v43, v53, v22
	v_sub_f32_e32 v53, v53, v22
	v_fma_f32 v22, -0.5, v28, v16
	s_delay_alu instid0(VALU_DEP_4) | instskip(NEXT) | instid1(VALU_DEP_4)
	v_add_f32_e32 v45, v55, v23
	v_fma_f32 v20, -0.5, v32, v16
	v_dual_sub_f32 v55, v55, v23 :: v_dual_sub_f32 v28, v4, v12
	v_dual_sub_f32 v31, v9, v1 :: v_dual_sub_f32 v34, v10, v2
	s_delay_alu instid0(VALU_DEP_3)
	v_fmamk_f32 v21, v26, 0x3f737871, v20
	v_dual_fmac_f32 v20, 0xbf737871, v26 :: v_dual_sub_f32 v27, v8, v0
	v_dual_sub_f32 v58, v14, v10 :: v_dual_add_f32 v57, v7, v3
	v_sub_f32_e32 v32, v1, v9
	global_inv scope:SCOPE_SE
	v_dual_add_f32 v27, v27, v24 :: v_dual_add_f32 v24, v1, v5
	v_fma_f32 v57, -0.5, v57, v19
	v_sub_f32_e32 v64, v3, v11
	s_delay_alu instid0(VALU_DEP_3) | instskip(NEXT) | instid1(VALU_DEP_3)
	v_fma_f32 v24, -0.5, v24, v17
	v_dual_sub_f32 v25, v5, v1 :: v_dual_fmamk_f32 v60, v58, 0xbf737871, v57
	s_delay_alu instid0(VALU_DEP_1)
	v_fmamk_f32 v23, v25, 0xbf737871, v22
	v_fmac_f32_e32 v22, 0x3f737871, v25
	v_sub_f32_e32 v51, v56, v29
	v_fmac_f32_e32 v21, 0x3f167918, v25
	v_fmac_f32_e32 v20, 0xbf167918, v25
	;; [unrolled: 1-line block ×4, first 2 shown]
	v_add_f32_e32 v26, v9, v13
	s_delay_alu instid0(VALU_DEP_4) | instskip(SKIP_4) | instid1(VALU_DEP_4)
	v_dual_add_f32 v41, v56, v29 :: v_dual_fmac_f32 v20, 0x3e9e377a, v27
	v_sub_f32_e32 v29, v0, v8
	v_fmac_f32_e32 v21, 0x3e9e377a, v27
	v_fmamk_f32 v25, v30, 0xbf737871, v24
	v_fma_f32 v26, -0.5, v26, v17
	v_dual_fmac_f32 v24, 0x3f737871, v30 :: v_dual_add_f32 v27, v29, v28
	v_dual_sub_f32 v28, v4, v0 :: v_dual_sub_f32 v29, v13, v5
	v_fmac_f32_e32 v60, 0xbf167918, v59
	v_fmac_f32_e32 v57, 0x3f737871, v58
	s_delay_alu instid0(VALU_DEP_4) | instskip(NEXT) | instid1(VALU_DEP_4)
	v_fmac_f32_e32 v22, 0x3e9e377a, v27
	v_fmac_f32_e32 v25, 0xbf167918, v28
	v_dual_add_f32 v29, v31, v29 :: v_dual_fmac_f32 v24, 0x3f167918, v28
	v_sub_f32_e32 v31, v5, v13
	s_delay_alu instid0(VALU_DEP_2) | instskip(NEXT) | instid1(VALU_DEP_3)
	v_fmac_f32_e32 v25, 0x3e9e377a, v29
	v_dual_fmac_f32 v24, 0x3e9e377a, v29 :: v_dual_add_f32 v29, v6, v2
	s_delay_alu instid0(VALU_DEP_1) | instskip(NEXT) | instid1(VALU_DEP_4)
	v_fma_f32 v35, -0.5, v29, v18
	v_add_f32_e32 v29, v32, v31
	v_sub_f32_e32 v32, v7, v3
	v_fmac_f32_e32 v23, 0x3e9e377a, v27
	v_fmamk_f32 v27, v28, 0x3f737871, v26
	v_fmac_f32_e32 v26, 0xbf737871, v28
	s_delay_alu instid0(VALU_DEP_2) | instskip(NEXT) | instid1(VALU_DEP_2)
	v_dual_sub_f32 v28, v15, v11 :: v_dual_fmac_f32 v27, 0xbf167918, v30
	v_fmac_f32_e32 v26, 0x3f167918, v30
	s_delay_alu instid0(VALU_DEP_2) | instskip(NEXT) | instid1(VALU_DEP_2)
	v_dual_add_f32 v30, v10, v14 :: v_dual_fmamk_f32 v31, v28, 0x3f737871, v35
	v_fmac_f32_e32 v26, 0x3e9e377a, v29
	s_delay_alu instid0(VALU_DEP_2) | instskip(SKIP_1) | instid1(VALU_DEP_4)
	v_fma_f32 v56, -0.5, v30, v18
	v_fmac_f32_e32 v35, 0xbf737871, v28
	v_dual_fmac_f32 v31, 0x3f167918, v32 :: v_dual_add_f32 v30, v34, v33
	s_delay_alu instid0(VALU_DEP_3) | instskip(NEXT) | instid1(VALU_DEP_3)
	v_dual_sub_f32 v34, v2, v10 :: v_dual_fmamk_f32 v33, v32, 0xbf737871, v56
	v_fmac_f32_e32 v35, 0xbf167918, v32
	v_fmac_f32_e32 v56, 0x3f737871, v32
	v_sub_f32_e32 v32, v15, v7
	s_delay_alu instid0(VALU_DEP_2) | instskip(NEXT) | instid1(VALU_DEP_2)
	v_fmac_f32_e32 v56, 0xbf167918, v28
	v_dual_add_f32 v32, v61, v32 :: v_dual_fmac_f32 v27, 0x3e9e377a, v29
	s_delay_alu instid0(VALU_DEP_1) | instskip(NEXT) | instid1(VALU_DEP_1)
	v_dual_sub_f32 v29, v6, v14 :: v_dual_fmac_f32 v60, 0x3e9e377a, v32
	v_dual_add_f32 v29, v34, v29 :: v_dual_add_f32 v34, v11, v15
	s_delay_alu instid0(VALU_DEP_1) | instskip(NEXT) | instid1(VALU_DEP_2)
	v_fmac_f32_e32 v56, 0x3e9e377a, v29
	v_fma_f32 v34, -0.5, v34, v19
	v_fmac_f32_e32 v57, 0x3f167918, v59
	s_delay_alu instid0(VALU_DEP_2) | instskip(SKIP_1) | instid1(VALU_DEP_3)
	v_fmamk_f32 v62, v59, 0x3f737871, v34
	v_fmac_f32_e32 v34, 0xbf737871, v59
	v_fmac_f32_e32 v57, 0x3e9e377a, v32
	s_delay_alu instid0(VALU_DEP_3) | instskip(NEXT) | instid1(VALU_DEP_3)
	v_fmac_f32_e32 v62, 0xbf167918, v58
	v_dual_fmac_f32 v34, 0x3f167918, v58 :: v_dual_sub_f32 v63, v7, v15
	v_mul_f32_e32 v58, 0x3e9e377a, v56
	s_delay_alu instid0(VALU_DEP_4) | instskip(NEXT) | instid1(VALU_DEP_3)
	v_mul_f32_e32 v59, 0x3f4f1bbd, v57
	v_add_f32_e32 v61, v64, v63
	s_delay_alu instid0(VALU_DEP_1) | instskip(SKIP_1) | instid1(VALU_DEP_2)
	v_dual_fmac_f32 v31, 0x3e9e377a, v30 :: v_dual_fmac_f32 v62, 0x3e9e377a, v61
	v_fmac_f32_e32 v34, 0x3e9e377a, v61
	v_mul_f32_e32 v32, 0xbf167918, v31
	v_fmac_f32_e32 v35, 0x3e9e377a, v30
	s_delay_alu instid0(VALU_DEP_3) | instskip(SKIP_3) | instid1(VALU_DEP_3)
	v_fma_f32 v30, 0x3f737871, v34, -v58
	v_fmac_f32_e32 v33, 0x3f167918, v28
	v_mul_f32_e32 v34, 0x3e9e377a, v34
	v_mul_f32_e32 v28, 0x3f167918, v60
	v_dual_sub_f32 v64, v22, v30 :: v_dual_fmac_f32 v33, 0x3e9e377a, v29
	v_mul_f32_e32 v29, 0x3f737871, v62
	s_delay_alu instid0(VALU_DEP_3) | instskip(SKIP_2) | instid1(VALU_DEP_4)
	v_fmac_f32_e32 v28, 0x3f4f1bbd, v31
	v_fma_f32 v34, 0xbf737871, v56, -v34
	v_mul_lo_u16 v56, v130, 10
	v_fmac_f32_e32 v29, 0x3e9e377a, v33
	v_mul_f32_e32 v33, 0xbf737871, v33
	s_delay_alu instid0(VALU_DEP_3) | instskip(NEXT) | instid1(VALU_DEP_2)
	v_dual_sub_f32 v65, v26, v34 :: v_dual_and_b32 v56, 0xffff, v56
	v_fmac_f32_e32 v33, 0x3e9e377a, v62
	v_fmac_f32_e32 v32, 0x3f4f1bbd, v60
	v_sub_f32_e32 v60, v21, v28
	v_sub_f32_e32 v62, v23, v29
	v_lshl_add_u32 v136, v56, 3, v133
	v_dual_sub_f32 v63, v27, v33 :: v_dual_mul_f32 v58, 0x3f4f1bbd, v35
	v_sub_f32_e32 v61, v25, v32
	v_fma_f32 v35, 0xbf167918, v35, -v59
	ds_store_b128 v136, v[36:39]
	ds_store_b128 v136, v[40:43] offset:16
	ds_store_b128 v136, v[44:47] offset:32
	;; [unrolled: 1-line block ×4, first 2 shown]
	v_fma_f32 v31, 0x3f167918, v57, -v58
	v_sub_f32_e32 v67, v24, v35
	s_delay_alu instid0(VALU_DEP_2)
	v_sub_f32_e32 v66, v20, v31
	s_and_saveexec_b32 s2, vcc_lo
	s_cbranch_execz .LBB0_7
; %bb.6:
	v_dual_add_f32 v13, v13, v17 :: v_dual_add_f32 v12, v12, v16
	v_dual_add_f32 v15, v15, v19 :: v_dual_add_f32 v14, v14, v18
	s_delay_alu instid0(VALU_DEP_2) | instskip(NEXT) | instid1(VALU_DEP_2)
	v_dual_add_f32 v5, v5, v13 :: v_dual_add_f32 v4, v4, v12
	v_dual_add_f32 v7, v7, v15 :: v_dual_add_f32 v6, v6, v14
	v_lshl_add_u32 v12, v134, 3, v133
	s_delay_alu instid0(VALU_DEP_3) | instskip(NEXT) | instid1(VALU_DEP_3)
	v_dual_add_f32 v1, v1, v5 :: v_dual_add_f32 v0, v0, v4
	v_dual_add_f32 v3, v3, v7 :: v_dual_add_f32 v2, v2, v6
	s_delay_alu instid0(VALU_DEP_2) | instskip(SKIP_1) | instid1(VALU_DEP_3)
	v_dual_add_f32 v7, v26, v34 :: v_dual_add_f32 v4, v9, v1
	v_add_f32_e32 v1, v24, v35
	v_add_f32_e32 v6, v11, v3
	v_dual_add_f32 v0, v8, v0 :: v_dual_add_f32 v5, v27, v33
	v_dual_add_f32 v8, v10, v2 :: v_dual_add_f32 v11, v25, v32
	s_delay_alu instid0(VALU_DEP_3) | instskip(SKIP_1) | instid1(VALU_DEP_3)
	v_dual_sub_f32 v3, v4, v6 :: v_dual_add_f32 v10, v21, v28
	v_dual_add_f32 v9, v6, v4 :: v_dual_add_f32 v4, v23, v29
	v_sub_f32_e32 v2, v0, v8
	v_add_f32_e32 v8, v8, v0
	v_add_f32_e32 v6, v22, v30
	v_add_f32_e32 v0, v20, v31
	ds_store_b128 v12, v[8:11]
	ds_store_b128 v12, v[4:7] offset:16
	ds_store_b128 v12, v[0:3] offset:32
	;; [unrolled: 1-line block ×4, first 2 shown]
.LBB0_7:
	s_wait_alu 0xfffe
	s_or_b32 exec_lo, exec_lo, s2
	v_and_b32_e32 v0, 0xff, v130
	global_wb scope:SCOPE_SE
	s_wait_dscnt 0x0
	s_barrier_signal -1
	s_barrier_wait -1
	global_inv scope:SCOPE_SE
	v_mul_lo_u16 v0, 0xcd, v0
	s_delay_alu instid0(VALU_DEP_1) | instskip(NEXT) | instid1(VALU_DEP_1)
	v_lshrrev_b16 v4, 11, v0
	v_mul_lo_u16 v0, v4, 10
	s_delay_alu instid0(VALU_DEP_1) | instskip(NEXT) | instid1(VALU_DEP_1)
	v_sub_nc_u16 v0, v130, v0
	v_and_b32_e32 v44, 0xff, v0
	s_delay_alu instid0(VALU_DEP_1)
	v_mad_co_u64_u32 v[0:1], null, 0x78, v44, s[0:1]
	s_clause 0x7
	global_load_b128 v[40:43], v[0:1], off
	global_load_b128 v[32:35], v[0:1], off offset:16
	global_load_b128 v[24:27], v[0:1], off offset:32
	;; [unrolled: 1-line block ×6, first 2 shown]
	global_load_b64 v[125:126], v[0:1], off offset:112
	v_add_nc_u32_e32 v137, 0x800, v129
	v_and_b32_e32 v8, 0xffff, v4
	v_add_nc_u32_e32 v139, 0x1c00, v129
	v_add_nc_u32_e32 v138, 0x2800, v129
	ds_load_2addr_b64 v[0:3], v129 offset1:100
	v_mul_u32_u24_e32 v46, 0xa0, v8
	ds_load_2addr_b64 v[8:11], v137 offset0:144 offset1:244
	v_add_nc_u32_e32 v5, 0x400, v129
	v_add_nc_u32_e32 v12, 0x1000, v129
	s_wait_loadcnt_dscnt 0x701
	v_mul_f32_e32 v69, v2, v41
	s_wait_loadcnt_dscnt 0x600
	v_mul_f32_e32 v75, v8, v35
	ds_load_2addr_b64 v[12:15], v12 offset0:88 offset1:188
	v_mul_f32_e32 v74, v9, v35
	ds_load_2addr_b64 v[4:7], v5 offset0:72 offset1:172
	v_add_nc_u32_e32 v45, 0x1800, v129
	v_dual_fmac_f32 v75, v9, v34 :: v_dual_add_nc_u32 v52, 0x2400, v129
	s_wait_loadcnt_dscnt 0x501
	v_mul_f32_e32 v79, v12, v27
	v_mul_f32_e32 v78, v13, v27
	s_wait_dscnt 0x0
	v_mul_f32_e32 v71, v4, v43
	v_or_b32_e32 v68, v46, v44
	ds_load_2addr_b64 v[44:47], v45 offset0:32 offset1:132
	ds_load_2addr_b64 v[48:51], v139 offset0:104 offset1:204
	;; [unrolled: 1-line block ×4, first 2 shown]
	v_mul_f32_e32 v70, v5, v43
	v_mul_f32_e32 v72, v7, v33
	;; [unrolled: 1-line block ×3, first 2 shown]
	v_lshl_add_u32 v135, v68, 3, v133
	v_mul_f32_e32 v68, v3, v41
	v_mul_f32_e32 v76, v11, v25
	s_wait_loadcnt 0x4
	v_dual_mul_f32 v80, v15, v17 :: v_dual_fmac_f32 v71, v5, v42
	v_mul_f32_e32 v81, v14, v17
	v_fma_f32 v5, v8, v34, -v74
	v_add_nc_u32_e32 v140, 0x1400, v129
	s_delay_alu instid0(VALU_DEP_4)
	v_fma_f32 v8, v14, v16, -v80
	v_fmac_f32_e32 v79, v13, v26
	v_mul_f32_e32 v77, v10, v25
	global_wb scope:SCOPE_SE
	s_wait_loadcnt_dscnt 0x0
	s_barrier_signal -1
	v_mul_f32_e32 v82, v45, v19
	v_mul_f32_e32 v86, v49, v39
	v_dual_mul_f32 v83, v44, v19 :: v_dual_mul_f32 v88, v51, v29
	v_dual_mul_f32 v91, v52, v31 :: v_dual_mul_f32 v92, v55, v21
	v_mul_f32_e32 v84, v47, v37
	v_dual_mul_f32 v85, v46, v37 :: v_dual_mul_f32 v94, v57, v23
	v_dual_mul_f32 v89, v50, v29 :: v_dual_mul_f32 v96, v59, v126
	v_mul_f32_e32 v95, v56, v23
	v_mul_f32_e32 v97, v58, v126
	v_fma_f32 v2, v2, v40, -v68
	v_fmac_f32_e32 v69, v3, v40
	v_fma_f32 v3, v4, v42, -v70
	v_fma_f32 v4, v6, v32, -v72
	v_fma_f32 v6, v10, v24, -v76
	v_fma_f32 v9, v44, v18, -v82
	v_fmac_f32_e32 v83, v45, v18
	v_fma_f32 v14, v54, v20, -v92
	v_fmac_f32_e32 v73, v7, v32
	v_fma_f32 v7, v12, v26, -v78
	v_fma_f32 v12, v50, v28, -v88
	v_fmac_f32_e32 v91, v53, v30
	v_mul_f32_e32 v87, v48, v39
	v_fma_f32 v10, v46, v36, -v84
	v_fma_f32 v44, v58, v125, -v96
	v_dual_sub_f32 v12, v4, v12 :: v_dual_mul_f32 v93, v54, v21
	v_dual_sub_f32 v46, v75, v91 :: v_dual_sub_f32 v9, v0, v9
	v_dual_fmac_f32 v85, v47, v36 :: v_dual_mul_f32 v90, v53, v31
	s_delay_alu instid0(VALU_DEP_4)
	v_dual_fmac_f32 v95, v57, v22 :: v_dual_sub_f32 v44, v8, v44
	v_fmac_f32_e32 v87, v49, v38
	v_sub_f32_e32 v10, v2, v10
	v_sub_f32_e32 v14, v6, v14
	v_fma_f32 v53, v75, 2.0, -v46
	v_sub_f32_e32 v46, v9, v46
	v_sub_f32_e32 v49, v69, v85
	v_fmac_f32_e32 v93, v55, v20
	v_fmac_f32_e32 v97, v59, v125
	v_fma_f32 v6, v6, 2.0, -v14
	v_fma_f32 v4, v4, 2.0, -v12
	v_dual_add_f32 v14, v49, v14 :: v_dual_fmac_f32 v81, v15, v16
	v_fmac_f32_e32 v77, v11, v24
	v_fma_f32 v11, v48, v38, -v86
	v_sub_f32_e32 v48, v79, v95
	v_fma_f32 v8, v8, 2.0, -v44
	v_fma_f32 v13, v52, v30, -v90
	s_delay_alu instid0(VALU_DEP_4) | instskip(NEXT) | instid1(VALU_DEP_4)
	v_dual_sub_f32 v52, v81, v97 :: v_dual_sub_f32 v11, v3, v11
	v_fma_f32 v55, v79, 2.0, -v48
	s_delay_alu instid0(VALU_DEP_4)
	v_sub_f32_e32 v8, v4, v8
	v_sub_f32_e32 v50, v77, v93
	v_fma_f32 v15, v56, v22, -v94
	v_sub_f32_e32 v48, v11, v48
	v_fma_f32 v0, v0, 2.0, -v9
	v_fma_f32 v3, v3, 2.0, -v11
	;; [unrolled: 1-line block ×5, first 2 shown]
	v_dual_fmac_f32 v89, v51, v28 :: v_dual_sub_f32 v50, v10, v50
	v_dual_sub_f32 v47, v71, v87 :: v_dual_fmamk_f32 v80, v48, 0x3f3504f3, v46
	s_delay_alu instid0(VALU_DEP_3) | instskip(SKIP_4) | instid1(VALU_DEP_4)
	v_fmamk_f32 v84, v11, 0xbf3504f3, v9
	v_fma_f32 v56, v69, 2.0, -v49
	v_fma_f32 v59, v81, 2.0, -v52
	v_dual_sub_f32 v52, v12, v52 :: v_dual_sub_f32 v15, v7, v15
	v_fma_f32 v4, v4, 2.0, -v8
	v_sub_f32_e32 v57, v56, v57
	v_fma_f32 v2, v2, 2.0, -v10
	s_delay_alu instid0(VALU_DEP_4) | instskip(SKIP_1) | instid1(VALU_DEP_4)
	v_fmamk_f32 v82, v52, 0x3f3504f3, v50
	v_fma_f32 v7, v7, 2.0, -v15
	v_dual_add_f32 v15, v47, v15 :: v_dual_add_f32 v8, v57, v8
	v_sub_f32_e32 v51, v73, v89
	v_dual_sub_f32 v13, v5, v13 :: v_dual_sub_f32 v6, v2, v6
	s_delay_alu instid0(VALU_DEP_3) | instskip(NEXT) | instid1(VALU_DEP_3)
	v_fmac_f32_e32 v80, 0xbf3504f3, v15
	v_dual_sub_f32 v45, v1, v83 :: v_dual_add_f32 v44, v51, v44
	s_delay_alu instid0(VALU_DEP_3)
	v_fma_f32 v5, v5, 2.0, -v13
	v_fma_f32 v58, v73, 2.0, -v51
	;; [unrolled: 1-line block ×5, first 2 shown]
	v_add_f32_e32 v13, v45, v13
	v_fma_f32 v47, v47, 2.0, -v15
	v_fma_f32 v12, v12, 2.0, -v52
	v_dual_sub_f32 v5, v0, v5 :: v_dual_fmac_f32 v82, 0xbf3504f3, v44
	s_delay_alu instid0(VALU_DEP_4) | instskip(NEXT) | instid1(VALU_DEP_4)
	v_fmamk_f32 v81, v15, 0x3f3504f3, v13
	v_fmac_f32_e32 v84, 0xbf3504f3, v47
	v_fma_f32 v56, v56, 2.0, -v57
	v_fma_f32 v1, v1, 2.0, -v45
	;; [unrolled: 1-line block ×3, first 2 shown]
	v_fmac_f32_e32 v81, 0x3f3504f3, v48
	v_dual_fmamk_f32 v48, v51, 0xbf3504f3, v49 :: v_dual_sub_f32 v59, v58, v59
	v_fma_f32 v2, v2, 2.0, -v6
	v_fma_f32 v45, v45, 2.0, -v13
	;; [unrolled: 1-line block ×3, first 2 shown]
	s_delay_alu instid0(VALU_DEP_4)
	v_fmac_f32_e32 v48, 0x3f3504f3, v12
	v_fma_f32 v58, v58, 2.0, -v59
	v_sub_f32_e32 v55, v54, v55
	v_sub_f32_e32 v59, v6, v59
	v_fmamk_f32 v83, v44, 0x3f3504f3, v14
	v_fmamk_f32 v74, v82, 0x3f6c835e, v80
	v_fma_f32 v46, v46, 2.0, -v80
	v_fma_f32 v54, v54, 2.0, -v55
	v_sub_f32_e32 v7, v3, v7
	v_fma_f32 v49, v49, 2.0, -v48
	s_barrier_wait -1
	global_inv scope:SCOPE_SE
	v_fma_f32 v3, v3, 2.0, -v7
	s_delay_alu instid0(VALU_DEP_1) | instskip(SKIP_2) | instid1(VALU_DEP_3)
	v_dual_sub_f32 v53, v1, v53 :: v_dual_sub_f32 v44, v0, v3
	v_dual_sub_f32 v3, v2, v4 :: v_dual_sub_f32 v4, v56, v58
	v_sub_f32_e32 v55, v5, v55
	v_fma_f32 v1, v1, 2.0, -v53
	s_delay_alu instid0(VALU_DEP_3) | instskip(NEXT) | instid1(VALU_DEP_3)
	v_sub_f32_e32 v76, v44, v4
	v_fmamk_f32 v72, v59, 0x3f3504f3, v55
	v_fmamk_f32 v85, v47, 0xbf3504f3, v45
	v_fmac_f32_e32 v83, 0x3f3504f3, v52
	v_fma_f32 v47, v5, 2.0, -v55
	v_fma_f32 v5, v6, 2.0, -v59
	v_fmac_f32_e32 v72, 0xbf3504f3, v8
	v_dual_fmamk_f32 v15, v12, 0xbf3504f3, v10 :: v_dual_sub_f32 v52, v1, v54
	v_fma_f32 v54, v13, 2.0, -v81
	s_delay_alu instid0(VALU_DEP_4)
	v_fmamk_f32 v68, v5, 0xbf3504f3, v47
	v_fma_f32 v13, v0, 2.0, -v44
	v_fmac_f32_e32 v74, 0xbec3ef15, v83
	v_fma_f32 v0, v2, 2.0, -v3
	v_fmac_f32_e32 v85, 0x3f3504f3, v11
	v_fma_f32 v11, v50, 2.0, -v82
	v_add_f32_e32 v7, v53, v7
	v_fma_f32 v6, v57, 2.0, -v8
	v_fmac_f32_e32 v15, 0xbf3504f3, v51
	v_fma_f32 v12, v14, 2.0, -v83
	v_fmamk_f32 v70, v11, 0xbec3ef15, v46
	v_fma_f32 v53, v53, 2.0, -v7
	v_fmac_f32_e32 v68, 0xbf3504f3, v6
	v_fmamk_f32 v73, v8, 0x3f3504f3, v7
	v_fmamk_f32 v75, v83, 0x3f6c835e, v81
	v_fma_f32 v50, v9, 2.0, -v84
	v_sub_f32_e32 v0, v13, v0
	v_fma_f32 v51, v45, 2.0, -v85
	v_fma_f32 v45, v10, 2.0, -v15
	;; [unrolled: 1-line block ×4, first 2 shown]
	v_fmamk_f32 v69, v6, 0xbf3504f3, v53
	v_fmamk_f32 v71, v12, 0xbec3ef15, v54
	v_dual_fmamk_f32 v78, v15, 0x3ec3ef15, v84 :: v_dual_fmamk_f32 v79, v48, 0x3ec3ef15, v85
	v_dual_add_f32 v77, v52, v3 :: v_dual_fmamk_f32 v2, v45, 0xbf6c835e, v50
	v_fmac_f32_e32 v73, 0x3f3504f3, v59
	v_fmac_f32_e32 v75, 0x3ec3ef15, v82
	s_delay_alu instid0(VALU_DEP_4)
	v_dual_fmamk_f32 v3, v49, 0xbf6c835e, v51 :: v_dual_fmac_f32 v78, 0xbf6c835e, v48
	v_dual_sub_f32 v1, v14, v1 :: v_dual_fmac_f32 v70, 0xbf6c835e, v12
	v_fmac_f32_e32 v69, 0x3f3504f3, v5
	v_fmac_f32_e32 v71, 0x3f6c835e, v11
	;; [unrolled: 1-line block ×3, first 2 shown]
	v_fma_f32 v6, v55, 2.0, -v72
	v_fma_f32 v7, v7, 2.0, -v73
	;; [unrolled: 1-line block ×4, first 2 shown]
	v_fmac_f32_e32 v2, 0xbec3ef15, v49
	v_fmac_f32_e32 v3, 0x3ec3ef15, v45
	v_fma_f32 v10, v13, 2.0, -v0
	v_fma_f32 v11, v14, 2.0, -v1
	;; [unrolled: 1-line block ×10, first 2 shown]
	ds_store_2addr_b64 v135, v[72:73], v[74:75] offset0:140 offset1:150
	ds_store_2addr_b64 v135, v[6:7], v[8:9] offset0:60 offset1:70
	;; [unrolled: 1-line block ×3, first 2 shown]
	v_fma_f32 v6, v50, 2.0, -v2
	v_fma_f32 v7, v51, 2.0, -v3
	ds_store_2addr_b64 v135, v[76:77], v[78:79] offset0:120 offset1:130
	ds_store_2addr_b64 v135, v[12:13], v[14:15] offset0:20 offset1:30
	;; [unrolled: 1-line block ×4, first 2 shown]
	ds_store_2addr_b64 v135, v[10:11], v[6:7] offset1:10
	global_wb scope:SCOPE_SE
	s_wait_dscnt 0x0
	s_barrier_signal -1
	s_barrier_wait -1
	global_inv scope:SCOPE_SE
	ds_load_2addr_b64 v[80:83], v129 offset1:160
	ds_load_2addr_b64 v[96:99], v137 offset0:64 offset1:224
	ds_load_2addr_b64 v[92:95], v140 offset1:160
	ds_load_2addr_b64 v[88:91], v139 offset0:64 offset1:224
	ds_load_2addr_b64 v[84:87], v138 offset1:160
	s_and_saveexec_b32 s2, vcc_lo
	s_cbranch_execz .LBB0_9
; %bb.8:
	v_add_nc_u32_e32 v0, 0x200, v129
	v_add_nc_u32_e32 v1, 0xc00, v129
	;; [unrolled: 1-line block ×5, first 2 shown]
	ds_load_2addr_b64 v[68:71], v0 offset0:36 offset1:196
	ds_load_2addr_b64 v[76:79], v1 offset0:36 offset1:196
	;; [unrolled: 1-line block ×5, first 2 shown]
.LBB0_9:
	s_wait_alu 0xfffe
	s_or_b32 exec_lo, exec_lo, s2
	v_mad_co_u64_u32 v[0:1], null, 0x48, v130, s[0:1]
	s_clause 0x4
	global_load_b128 v[56:59], v[0:1], off offset:1200
	global_load_b128 v[52:55], v[0:1], off offset:1216
	;; [unrolled: 1-line block ×4, first 2 shown]
	global_load_b64 v[127:128], v[0:1], off offset:1264
	v_subrev_nc_u32_e32 v0, 60, v130
	s_wait_loadcnt_dscnt 0x404
	s_delay_alu instid0(VALU_DEP_1) | instskip(NEXT) | instid1(VALU_DEP_1)
	v_dual_cndmask_b32 v0, v0, v123 :: v_dual_mul_f32 v141, v82, v57
	v_mul_i32_i24_e32 v1, 0x48, v0
	v_mul_hi_i32_i24_e32 v0, 0x48, v0
	s_wait_dscnt 0x3
	v_dual_mul_f32 v142, v83, v57 :: v_dual_mul_f32 v143, v97, v59
	s_wait_loadcnt 0x3
	v_dual_mul_f32 v144, v96, v59 :: v_dual_mul_f32 v145, v99, v53
	v_add_co_u32 v123, s0, s0, v1
	s_wait_alu 0xf1ff
	v_add_co_ci_u32_e64 v124, s0, s1, v0, s0
	s_wait_dscnt 0x2
	v_dual_mul_f32 v146, v98, v53 :: v_dual_mul_f32 v147, v93, v55
	s_clause 0x4
	global_load_b128 v[4:7], v[123:124], off offset:1200
	global_load_b128 v[0:3], v[123:124], off offset:1216
	;; [unrolled: 1-line block ×4, first 2 shown]
	global_load_b64 v[123:124], v[123:124], off offset:1264
	s_wait_loadcnt 0x7
	v_dual_mul_f32 v148, v92, v55 :: v_dual_mul_f32 v149, v95, v49
	s_wait_dscnt 0x1
	v_dual_mul_f32 v150, v94, v49 :: v_dual_mul_f32 v151, v89, v51
	s_wait_loadcnt 0x6
	v_dual_mul_f32 v152, v88, v51 :: v_dual_mul_f32 v153, v91, v45
	s_wait_dscnt 0x0
	v_dual_mul_f32 v154, v90, v45 :: v_dual_mul_f32 v155, v85, v47
	s_wait_loadcnt 0x5
	v_dual_mul_f32 v156, v84, v47 :: v_dual_mul_f32 v157, v87, v128
	v_dual_fmac_f32 v141, v83, v56 :: v_dual_fmac_f32 v144, v97, v58
	v_fma_f32 v83, v96, v58, -v143
	v_fma_f32 v96, v98, v52, -v145
	;; [unrolled: 1-line block ×4, first 2 shown]
	v_fmac_f32_e32 v148, v93, v54
	v_fma_f32 v93, v94, v48, -v149
	v_fma_f32 v84, v84, v46, -v155
	v_fmac_f32_e32 v152, v89, v50
	v_fma_f32 v89, v90, v44, -v153
	v_mul_f32_e32 v158, v86, v128
	v_fma_f32 v82, v82, v56, -v142
	v_dual_fmac_f32 v146, v99, v52 :: v_dual_sub_f32 v161, v96, v93
	v_fmac_f32_e32 v156, v85, v46
	v_fma_f32 v85, v86, v127, -v157
	v_fmac_f32_e32 v154, v91, v44
	v_sub_f32_e32 v99, v88, v84
	v_dual_add_f32 v157, v93, v89 :: v_dual_fmac_f32 v158, v87, v127
	v_fmac_f32_e32 v150, v95, v48
	v_dual_add_f32 v86, v80, v83 :: v_dual_add_f32 v97, v83, v84
	v_add_f32_e32 v87, v92, v88
	v_sub_f32_e32 v95, v84, v88
	v_sub_f32_e32 v91, v148, v152
	v_dual_sub_f32 v90, v144, v156 :: v_dual_sub_f32 v165, v89, v85
	v_sub_f32_e32 v98, v92, v83
	v_dual_sub_f32 v147, v144, v148 :: v_dual_add_f32 v166, v141, v146
	v_sub_f32_e32 v153, v152, v156
	v_add_f32_e32 v155, v82, v96
	v_dual_sub_f32 v159, v146, v158 :: v_dual_add_f32 v142, v81, v144
	v_sub_f32_e32 v169, v146, v150
	v_dual_add_f32 v163, v96, v85 :: v_dual_sub_f32 v94, v83, v92
	v_add_f32_e32 v167, v150, v154
	v_dual_add_f32 v151, v144, v156 :: v_dual_sub_f32 v170, v158, v154
	v_dual_sub_f32 v144, v148, v144 :: v_dual_add_f32 v171, v146, v158
	v_sub_f32_e32 v164, v93, v96
	v_dual_add_f32 v143, v148, v152 :: v_dual_sub_f32 v160, v150, v154
	v_sub_f32_e32 v83, v83, v84
	v_dual_sub_f32 v145, v92, v88 :: v_dual_sub_f32 v162, v85, v89
	v_dual_sub_f32 v149, v156, v152 :: v_dual_sub_f32 v168, v93, v89
	v_sub_f32_e32 v96, v96, v85
	v_sub_f32_e32 v146, v150, v146
	;; [unrolled: 1-line block ×3, first 2 shown]
	v_dual_add_f32 v86, v86, v92 :: v_dual_add_f32 v93, v155, v93
	v_add_f32_e32 v92, v94, v95
	v_add_f32_e32 v94, v98, v99
	;; [unrolled: 1-line block ×3, first 2 shown]
	v_fma_f32 v99, -0.5, v157, v82
	v_fma_f32 v87, -0.5, v87, v80
	;; [unrolled: 1-line block ×3, first 2 shown]
	v_dual_fmac_f32 v82, -0.5, v163 :: v_dual_add_f32 v95, v142, v148
	v_fma_f32 v148, -0.5, v167, v141
	v_fmac_f32_e32 v141, -0.5, v171
	v_fma_f32 v142, -0.5, v143, v81
	v_fma_f32 v81, -0.5, v151, v81
	v_add_f32_e32 v143, v161, v162
	v_add_f32_e32 v97, v147, v149
	;; [unrolled: 1-line block ×3, first 2 shown]
	s_wait_loadcnt 0x4
	v_dual_add_f32 v149, v169, v170 :: v_dual_mul_f32 v174, v70, v5
	s_wait_loadcnt 0x3
	v_dual_mul_f32 v179, v73, v3 :: v_dual_mul_f32 v178, v78, v1
	s_wait_loadcnt 0x2
	v_mul_f32_e32 v183, v61, v15
	v_mul_f32_e32 v173, v71, v5
	;; [unrolled: 1-line block ×3, first 2 shown]
	v_dual_mul_f32 v176, v76, v7 :: v_dual_mul_f32 v177, v79, v1
	v_dual_mul_f32 v180, v72, v3 :: v_dual_mul_f32 v181, v75, v13
	s_wait_loadcnt 0x1
	v_dual_mul_f32 v182, v74, v13 :: v_dual_mul_f32 v187, v65, v11
	v_dual_mul_f32 v184, v60, v15 :: v_dual_mul_f32 v185, v63, v9
	s_wait_loadcnt 0x0
	v_dual_mul_f32 v186, v62, v9 :: v_dual_mul_f32 v189, v67, v124
	v_mul_f32_e32 v188, v64, v11
	v_mul_f32_e32 v190, v66, v124
	v_add_f32_e32 v144, v164, v165
	v_fma_f32 v72, v72, v2, -v179
	v_fma_f32 v60, v60, v14, -v183
	;; [unrolled: 1-line block ×3, first 2 shown]
	v_fmac_f32_e32 v174, v71, v4
	v_fma_f32 v70, v76, v6, -v175
	v_fmac_f32_e32 v176, v77, v6
	v_fmac_f32_e32 v178, v79, v0
	;; [unrolled: 1-line block ×3, first 2 shown]
	v_fma_f32 v73, v74, v12, -v181
	v_fmac_f32_e32 v184, v61, v14
	v_fma_f32 v61, v62, v8, -v185
	v_fma_f32 v62, v64, v10, -v187
	v_fmac_f32_e32 v186, v63, v8
	v_fma_f32 v63, v66, v123, -v189
	v_dual_add_f32 v64, v86, v88 :: v_dual_fmamk_f32 v77, v83, 0xbf737871, v142
	v_fmamk_f32 v74, v159, 0x3f737871, v99
	v_fmac_f32_e32 v99, 0xbf737871, v159
	v_dual_add_f32 v157, v69, v176 :: v_dual_fmac_f32 v190, v67, v123
	v_dual_add_f32 v67, v93, v89 :: v_dual_fmamk_f32 v88, v168, 0x3f737871, v141
	v_sub_f32_e32 v175, v63, v61
	v_fmac_f32_e32 v141, 0xbf737871, v168
	v_dual_add_f32 v93, v72, v60 :: v_dual_fmac_f32 v188, v65, v10
	v_fma_f32 v71, v78, v0, -v177
	v_dual_fmac_f32 v182, v75, v12 :: v_dual_add_f32 v89, v68, v70
	v_fmamk_f32 v65, v90, 0x3f737871, v87
	v_dual_fmamk_f32 v76, v91, 0xbf737871, v80 :: v_dual_sub_f32 v151, v70, v72
	v_dual_fmac_f32 v80, 0x3f737871, v91 :: v_dual_add_f32 v79, v147, v154
	v_dual_add_f32 v66, v95, v152 :: v_dual_fmamk_f32 v75, v160, 0xbf737871, v82
	v_dual_fmac_f32 v142, 0x3f737871, v83 :: v_dual_sub_f32 v155, v60, v62
	v_dual_fmamk_f32 v78, v145, 0x3f737871, v81 :: v_dual_add_f32 v161, v180, v184
	v_fmac_f32_e32 v81, 0xbf737871, v145
	v_dual_fmac_f32 v82, 0x3f737871, v160 :: v_dual_add_f32 v169, v150, v71
	v_sub_f32_e32 v147, v180, v184
	v_sub_f32_e32 v95, v176, v188
	v_dual_fmamk_f32 v86, v96, 0xbf737871, v148 :: v_dual_sub_f32 v171, v178, v190
	v_dual_fmac_f32 v148, 0x3f737871, v96 :: v_dual_sub_f32 v173, v71, v73
	v_dual_sub_f32 v152, v62, v60 :: v_dual_sub_f32 v177, v73, v71
	v_add_f32_e32 v153, v70, v62
	v_dual_sub_f32 v154, v72, v70 :: v_dual_sub_f32 v179, v61, v63
	v_dual_sub_f32 v162, v70, v62 :: v_dual_sub_f32 v163, v72, v60
	v_dual_sub_f32 v70, v176, v180 :: v_dual_add_f32 v181, v174, v178
	v_dual_add_f32 v165, v176, v188 :: v_dual_add_f32 v170, v73, v61
	v_dual_fmac_f32 v74, 0x3f167918, v160 :: v_dual_fmac_f32 v75, 0x3f167918, v159
	v_dual_add_f32 v146, v146, v172 :: v_dual_fmac_f32 v87, 0xbf737871, v90
	v_dual_sub_f32 v164, v188, v184 :: v_dual_add_f32 v183, v182, v186
	v_dual_sub_f32 v166, v180, v176 :: v_dual_sub_f32 v185, v71, v63
	v_dual_sub_f32 v167, v184, v188 :: v_dual_sub_f32 v172, v182, v186
	v_dual_add_f32 v176, v71, v63 :: v_dual_sub_f32 v187, v73, v61
	v_dual_sub_f32 v71, v178, v182 :: v_dual_add_f32 v64, v64, v84
	v_dual_sub_f32 v189, v190, v186 :: v_dual_fmac_f32 v142, 0x3f167918, v145
	v_dual_add_f32 v191, v178, v190 :: v_dual_fmac_f32 v78, 0xbf167918, v83
	v_dual_sub_f32 v178, v182, v178 :: v_dual_fmac_f32 v65, 0x3f167918, v91
	v_dual_fmac_f32 v76, 0x3f167918, v90 :: v_dual_fmac_f32 v81, 0x3f167918, v83
	v_dual_fmac_f32 v80, 0xbf167918, v90 :: v_dual_fmac_f32 v77, 0xbf167918, v145
	v_dual_add_f32 v66, v66, v156 :: v_dual_add_f32 v67, v67, v85
	v_dual_fmac_f32 v99, 0xbf167918, v160 :: v_dual_fmac_f32 v82, 0xbf167918, v159
	v_dual_add_f32 v79, v79, v158 :: v_dual_fmac_f32 v86, 0xbf167918, v168
	v_fmac_f32_e32 v148, 0x3f167918, v168
	v_fmac_f32_e32 v88, 0xbf167918, v96
	v_fmac_f32_e32 v141, 0x3f167918, v96
	v_dual_add_f32 v83, v89, v72 :: v_dual_add_f32 v156, v71, v189
	v_fma_f32 v85, -0.5, v93, v68
	v_dual_add_f32 v84, v151, v152 :: v_dual_add_f32 v93, v166, v167
	v_dual_fmac_f32 v68, -0.5, v153 :: v_dual_add_f32 v89, v154, v155
	v_dual_add_f32 v90, v157, v180 :: v_dual_fmac_f32 v77, 0x3e9e377a, v97
	v_fma_f32 v145, -0.5, v161, v69
	v_fma_f32 v151, -0.5, v170, v150
	v_dual_add_f32 v154, v181, v182 :: v_dual_fmac_f32 v65, 0x3e9e377a, v92
	v_dual_fmac_f32 v74, 0x3e9e377a, v143 :: v_dual_fmac_f32 v141, 0x3e9e377a, v146
	v_dual_sub_f32 v192, v186, v190 :: v_dual_fmac_f32 v87, 0xbf167918, v91
	v_dual_add_f32 v91, v70, v164 :: v_dual_add_f32 v96, v169, v73
	v_dual_fmac_f32 v69, -0.5, v165 :: v_dual_fmac_f32 v150, -0.5, v176
	v_add_f32_e32 v153, v177, v179
	v_fma_f32 v155, -0.5, v183, v174
	v_dual_fmac_f32 v76, 0x3e9e377a, v94 :: v_dual_fmac_f32 v99, 0x3e9e377a, v143
	v_dual_fmac_f32 v80, 0x3e9e377a, v94 :: v_dual_fmac_f32 v75, 0x3e9e377a, v144
	;; [unrolled: 1-line block ×3, first 2 shown]
	v_dual_fmac_f32 v78, 0x3e9e377a, v98 :: v_dual_add_f32 v71, v66, v79
	v_dual_fmac_f32 v82, 0x3e9e377a, v144 :: v_dual_sub_f32 v73, v66, v79
	v_fmac_f32_e32 v86, 0x3e9e377a, v149
	v_dual_fmac_f32 v88, 0x3e9e377a, v146 :: v_dual_add_f32 v61, v96, v61
	v_add_f32_e32 v70, v64, v67
	v_dual_sub_f32 v72, v64, v67 :: v_dual_fmamk_f32 v143, v147, 0xbf737871, v68
	v_fmac_f32_e32 v68, 0x3f737871, v147
	v_add_f32_e32 v64, v90, v184
	v_fmamk_f32 v144, v162, 0xbf737871, v145
	v_fmac_f32_e32 v145, 0x3f737871, v162
	v_fmamk_f32 v79, v171, 0x3f737871, v151
	v_dual_fmac_f32 v151, 0xbf737871, v171 :: v_dual_add_f32 v66, v154, v186
	v_dual_mul_f32 v97, 0xbf167918, v74 :: v_dual_fmac_f32 v68, 0xbf167918, v95
	v_dual_fmac_f32 v174, -0.5, v191 :: v_dual_fmac_f32 v87, 0x3e9e377a, v92
	v_dual_fmac_f32 v148, 0x3e9e377a, v149 :: v_dual_add_f32 v63, v61, v63
	v_add_f32_e32 v60, v83, v60
	v_fmamk_f32 v83, v95, 0x3f737871, v85
	v_fmac_f32_e32 v85, 0xbf737871, v95
	v_fmamk_f32 v146, v163, 0x3f737871, v69
	v_fmac_f32_e32 v69, 0xbf737871, v163
	v_dual_fmamk_f32 v154, v185, 0xbf737871, v155 :: v_dual_mul_f32 v159, 0xbf737871, v75
	v_mul_f32_e32 v67, 0x3e9e377a, v82
	v_dual_mul_f32 v90, 0x3f4f1bbd, v99 :: v_dual_fmac_f32 v97, 0x3f4f1bbd, v86
	s_delay_alu instid0(VALU_DEP_3)
	v_dual_mul_f32 v92, 0x3e9e377a, v141 :: v_dual_fmac_f32 v159, 0x3e9e377a, v88
	v_dual_fmac_f32 v143, 0x3f167918, v95 :: v_dual_add_f32 v64, v64, v188
	v_dual_add_f32 v95, v66, v190 :: v_dual_mul_f32 v96, 0x3f737871, v88
	v_dual_add_f32 v152, v173, v175 :: v_dual_add_f32 v157, v178, v192
	v_fmamk_f32 v149, v172, 0xbf737871, v150
	v_dual_fmac_f32 v150, 0x3f737871, v172 :: v_dual_fmac_f32 v155, 0x3f737871, v185
	v_fmamk_f32 v158, v187, 0x3f737871, v174
	v_fmac_f32_e32 v174, 0xbf737871, v187
	v_dual_mul_f32 v94, 0x3f167918, v86 :: v_dual_fmac_f32 v83, 0x3f167918, v147
	v_mul_f32_e32 v98, 0x3f4f1bbd, v148
	v_dual_add_f32 v62, v60, v62 :: v_dual_fmac_f32 v85, 0xbf167918, v147
	v_dual_fmac_f32 v144, 0xbf167918, v163 :: v_dual_fmac_f32 v151, 0xbf167918, v172
	s_delay_alu instid0(VALU_DEP_2)
	v_dual_fmac_f32 v79, 0x3f167918, v172 :: v_dual_sub_f32 v66, v62, v63
	v_fma_f32 v141, 0x3f737871, v141, -v67
	v_fma_f32 v147, 0x3f167918, v148, -v90
	;; [unrolled: 1-line block ×3, first 2 shown]
	v_add_f32_e32 v61, v64, v95
	v_dual_fmac_f32 v96, 0x3e9e377a, v75 :: v_dual_fmac_f32 v83, 0x3e9e377a, v84
	v_add_f32_e32 v75, v77, v97
	v_dual_fmac_f32 v145, 0x3f167918, v163 :: v_dual_fmac_f32 v174, 0x3f167918, v185
	v_fmac_f32_e32 v146, 0xbf167918, v162
	v_dual_fmac_f32 v69, 0x3f167918, v162 :: v_dual_add_f32 v60, v62, v63
	v_fmac_f32_e32 v150, 0xbf167918, v171
	v_dual_fmac_f32 v155, 0x3f167918, v187 :: v_dual_add_f32 v88, v76, v96
	v_fmac_f32_e32 v158, 0xbf167918, v185
	v_fmac_f32_e32 v94, 0x3f4f1bbd, v74
	v_dual_fmac_f32 v85, 0x3e9e377a, v84 :: v_dual_fmac_f32 v68, 0x3e9e377a, v89
	v_dual_fmac_f32 v143, 0x3e9e377a, v89 :: v_dual_fmac_f32 v144, 0x3e9e377a, v91
	v_sub_f32_e32 v67, v64, v95
	v_fma_f32 v86, 0xbf167918, v99, -v98
	v_fmac_f32_e32 v154, 0xbf167918, v187
	v_dual_add_f32 v90, v80, v141 :: v_dual_add_f32 v89, v78, v159
	v_dual_fmac_f32 v145, 0x3e9e377a, v91 :: v_dual_fmac_f32 v146, 0x3e9e377a, v93
	v_add_f32_e32 v91, v81, v82
	v_dual_fmac_f32 v79, 0x3e9e377a, v152 :: v_dual_fmac_f32 v150, 0x3e9e377a, v153
	v_dual_sub_f32 v98, v80, v141 :: v_dual_sub_f32 v141, v87, v147
	v_dual_fmac_f32 v151, 0x3e9e377a, v152 :: v_dual_fmac_f32 v158, 0x3e9e377a, v157
	v_sub_f32_e32 v95, v77, v97
	v_dual_fmac_f32 v149, 0x3f167918, v171 :: v_dual_add_f32 v74, v65, v94
	v_fmac_f32_e32 v69, 0x3e9e377a, v93
	v_dual_fmac_f32 v155, 0x3e9e377a, v156 :: v_dual_fmac_f32 v174, 0x3e9e377a, v157
	s_delay_alu instid0(VALU_DEP_3) | instskip(SKIP_4) | instid1(VALU_DEP_3)
	v_dual_fmac_f32 v149, 0x3e9e377a, v153 :: v_dual_add_f32 v92, v87, v147
	v_dual_add_f32 v93, v142, v86 :: v_dual_fmac_f32 v154, 0x3e9e377a, v156
	v_dual_sub_f32 v94, v65, v94 :: v_dual_mul_f32 v63, 0x3f4f1bbd, v151
	v_dual_sub_f32 v142, v142, v86 :: v_dual_mul_f32 v87, 0xbf167918, v79
	v_dual_sub_f32 v96, v76, v96 :: v_dual_sub_f32 v99, v81, v82
	v_fma_f32 v148, 0x3f167918, v155, -v63
	v_mul_f32_e32 v81, 0x3f737871, v158
	s_delay_alu instid0(VALU_DEP_4) | instskip(SKIP_2) | instid1(VALU_DEP_4)
	v_fmac_f32_e32 v87, 0x3f4f1bbd, v154
	v_mul_f32_e32 v80, 0x3f167918, v154
	v_dual_mul_f32 v62, 0x3e9e377a, v150 :: v_dual_sub_f32 v97, v78, v159
	v_fmac_f32_e32 v81, 0x3e9e377a, v149
	s_delay_alu instid0(VALU_DEP_4) | instskip(NEXT) | instid1(VALU_DEP_4)
	v_add_f32_e32 v63, v144, v87
	v_fmac_f32_e32 v80, 0x3f4f1bbd, v79
	v_mul_f32_e32 v147, 0xbf737871, v149
	s_delay_alu instid0(VALU_DEP_4) | instskip(SKIP_1) | instid1(VALU_DEP_3)
	v_dual_mul_f32 v65, 0x3f4f1bbd, v155 :: v_dual_add_f32 v76, v143, v81
	v_fma_f32 v82, 0x3f737871, v174, -v62
	v_dual_add_f32 v62, v83, v80 :: v_dual_fmac_f32 v147, 0x3e9e377a, v158
	v_mul_f32_e32 v64, 0x3e9e377a, v174
	v_sub_f32_e32 v86, v143, v81
	ds_store_2addr_b64 v129, v[70:71], v[74:75] offset1:160
	ds_store_2addr_b64 v137, v[88:89], v[90:91] offset0:64 offset1:224
	ds_store_2addr_b64 v140, v[92:93], v[72:73] offset1:160
	ds_store_2addr_b64 v139, v[94:95], v[96:97] offset0:64 offset1:224
	ds_store_2addr_b64 v138, v[98:99], v[141:142] offset1:160
	v_add_f32_e32 v77, v146, v147
	v_fma_f32 v149, 0xbf737871, v150, -v64
	v_fma_f32 v150, 0xbf167918, v151, -v65
	v_add_f32_e32 v64, v85, v148
	s_delay_alu instid0(VALU_DEP_3) | instskip(NEXT) | instid1(VALU_DEP_3)
	v_add_f32_e32 v79, v69, v149
	v_dual_add_f32 v65, v145, v150 :: v_dual_sub_f32 v84, v83, v80
	v_add_f32_e32 v78, v68, v82
	v_dual_sub_f32 v80, v68, v82 :: v_dual_sub_f32 v81, v69, v149
	v_dual_sub_f32 v82, v85, v148 :: v_dual_sub_f32 v85, v144, v87
	v_sub_f32_e32 v87, v146, v147
	v_sub_f32_e32 v83, v145, v150
	s_and_saveexec_b32 s0, vcc_lo
	s_cbranch_execz .LBB0_11
; %bb.10:
	v_add_nc_u32_e32 v68, 0x200, v129
	v_add_nc_u32_e32 v69, 0xc00, v129
	;; [unrolled: 1-line block ×5, first 2 shown]
	ds_store_2addr_b64 v68, v[60:61], v[62:63] offset0:36 offset1:196
	ds_store_2addr_b64 v69, v[76:77], v[78:79] offset0:36 offset1:196
	;; [unrolled: 1-line block ×5, first 2 shown]
.LBB0_11:
	s_wait_alu 0xfffe
	s_or_b32 exec_lo, exec_lo, s0
	global_wb scope:SCOPE_SE
	s_wait_dscnt 0x0
	s_barrier_signal -1
	s_barrier_wait -1
	global_inv scope:SCOPE_SE
	global_load_b64 v[69:70], v[100:101], off offset:12800
	v_lshlrev_b32_e32 v68, 3, v130
	s_add_nc_u64 s[0:1], s[12:13], 0x3200
	s_clause 0x8
	global_load_b64 v[145:146], v68, s[0:1] offset:1280
	global_load_b64 v[147:148], v68, s[0:1] offset:2560
	;; [unrolled: 1-line block ×9, first 2 shown]
	v_add_nc_u32_e32 v75, 0x800, v129
	ds_load_2addr_b64 v[88:91], v129 offset1:160
	v_add_nc_u32_e32 v74, 0x1400, v129
	v_add_nc_u32_e32 v72, 0x2800, v129
	ds_load_2addr_b64 v[92:95], v75 offset0:64 offset1:224
	s_wait_loadcnt_dscnt 0x600
	v_dual_mul_f32 v164, v95, v150 :: v_dual_add_nc_u32 v73, 0x1c00, v129
	v_mul_f32_e32 v163, v89, v70
	ds_load_2addr_b64 v[96:99], v74 offset1:160
	v_mul_f32_e32 v71, v88, v70
	ds_load_2addr_b64 v[137:140], v73 offset0:64 offset1:224
	ds_load_2addr_b64 v[141:144], v72 offset1:160
	v_fma_f32 v70, v88, v69, -v163
	v_mul_f32_e32 v163, v93, v148
	v_fmac_f32_e32 v71, v89, v69
	v_mul_f32_e32 v69, v91, v146
	v_dual_mul_f32 v89, v90, v146 :: v_dual_mul_f32 v146, v92, v148
	v_mul_f32_e32 v148, v94, v150
	s_delay_alu instid0(VALU_DEP_2) | instskip(SKIP_1) | instid1(VALU_DEP_2)
	v_fmac_f32_e32 v146, v93, v147
	s_wait_loadcnt_dscnt 0x502
	v_dual_fmac_f32 v148, v95, v149 :: v_dual_mul_f32 v165, v97, v152
	s_wait_loadcnt 0x4
	v_mul_f32_e32 v166, v99, v154
	v_mul_f32_e32 v150, v96, v152
	v_mul_f32_e32 v152, v98, v154
	s_wait_loadcnt_dscnt 0x201
	v_dual_mul_f32 v167, v138, v156 :: v_dual_mul_f32 v168, v140, v158
	v_mul_f32_e32 v154, v137, v156
	s_wait_loadcnt_dscnt 0x100
	v_dual_mul_f32 v156, v139, v158 :: v_dual_mul_f32 v169, v142, v160
	v_mul_f32_e32 v158, v141, v160
	s_wait_loadcnt 0x0
	v_mul_f32_e32 v170, v144, v162
	v_mul_f32_e32 v160, v143, v162
	v_fma_f32 v88, v90, v145, -v69
	v_fmac_f32_e32 v89, v91, v145
	v_fma_f32 v145, v92, v147, -v163
	v_fma_f32 v147, v94, v149, -v164
	;; [unrolled: 1-line block ×3, first 2 shown]
	v_fmac_f32_e32 v150, v97, v151
	v_fma_f32 v151, v98, v153, -v166
	v_fmac_f32_e32 v152, v99, v153
	v_fma_f32 v153, v137, v155, -v167
	;; [unrolled: 2-line block ×5, first 2 shown]
	v_fmac_f32_e32 v160, v144, v161
	ds_store_2addr_b64 v129, v[70:71], v[88:89] offset1:160
	ds_store_2addr_b64 v75, v[145:146], v[147:148] offset0:64 offset1:224
	ds_store_2addr_b64 v74, v[149:150], v[151:152] offset1:160
	ds_store_2addr_b64 v73, v[153:154], v[155:156] offset0:64 offset1:224
	ds_store_2addr_b64 v72, v[157:158], v[159:160] offset1:160
	s_and_saveexec_b32 s2, vcc_lo
	s_cbranch_execz .LBB0_13
; %bb.12:
	s_wait_alu 0xfffe
	v_add_co_u32 v68, s0, s0, v68
	s_wait_alu 0xf1ff
	v_add_co_ci_u32_e64 v69, null, s1, 0, s0
	s_clause 0x9
	global_load_b64 v[141:142], v[68:69], off offset:800
	global_load_b64 v[143:144], v[68:69], off offset:2080
	;; [unrolled: 1-line block ×10, first 2 shown]
	v_add_nc_u32_e32 v162, 0x200, v129
	ds_load_2addr_b64 v[68:71], v162 offset0:36 offset1:196
	v_add_nc_u32_e32 v163, 0xc00, v129
	v_add_nc_u32_e32 v164, 0x1600, v129
	v_add_nc_u32_e32 v165, 0x2000, v129
	s_wait_loadcnt_dscnt 0x800
	v_dual_mul_f32 v161, v68, v142 :: v_dual_mul_f32 v168, v71, v144
	ds_load_2addr_b64 v[88:91], v163 offset0:36 offset1:196
	v_add_nc_u32_e32 v166, 0x2a00, v129
	ds_load_2addr_b64 v[92:95], v164 offset0:36 offset1:196
	v_dual_mul_f32 v167, v69, v142 :: v_dual_mul_f32 v142, v70, v144
	s_delay_alu instid0(VALU_DEP_1)
	v_dual_fmac_f32 v161, v69, v141 :: v_dual_fmac_f32 v142, v71, v143
	s_wait_loadcnt_dscnt 0x701
	v_mul_f32_e32 v169, v89, v146
	ds_load_2addr_b64 v[96:99], v165 offset0:36 offset1:196
	ds_load_2addr_b64 v[137:140], v166 offset0:36 offset1:196
	v_mul_f32_e32 v144, v88, v146
	s_wait_loadcnt_dscnt 0x502
	v_dual_mul_f32 v170, v91, v148 :: v_dual_mul_f32 v171, v93, v150
	v_mul_f32_e32 v146, v90, v148
	v_mul_f32_e32 v148, v92, v150
	s_wait_loadcnt 0x4
	v_mul_f32_e32 v172, v95, v152
	v_mul_f32_e32 v150, v94, v152
	v_fmac_f32_e32 v144, v89, v145
	v_fmac_f32_e32 v148, v93, v149
	s_wait_loadcnt_dscnt 0x301
	s_delay_alu instid0(VALU_DEP_3)
	v_dual_fmac_f32 v150, v95, v151 :: v_dual_mul_f32 v173, v97, v154
	s_wait_loadcnt_dscnt 0x100
	v_mul_f32_e32 v175, v138, v158
	v_mul_f32_e32 v152, v96, v154
	;; [unrolled: 1-line block ×5, first 2 shown]
	s_wait_loadcnt 0x0
	v_mul_f32_e32 v176, v140, v160
	v_mul_f32_e32 v158, v139, v160
	v_fma_f32 v160, v68, v141, -v167
	v_fma_f32 v141, v70, v143, -v168
	;; [unrolled: 1-line block ×4, first 2 shown]
	v_fmac_f32_e32 v146, v91, v147
	v_fma_f32 v147, v92, v149, -v171
	v_fma_f32 v149, v94, v151, -v172
	;; [unrolled: 1-line block ×3, first 2 shown]
	v_fmac_f32_e32 v152, v97, v153
	v_fma_f32 v153, v98, v155, -v174
	v_fmac_f32_e32 v154, v99, v155
	v_fma_f32 v155, v137, v157, -v175
	;; [unrolled: 2-line block ×3, first 2 shown]
	v_fmac_f32_e32 v158, v140, v159
	ds_store_2addr_b64 v162, v[160:161], v[141:142] offset0:36 offset1:196
	ds_store_2addr_b64 v163, v[143:144], v[145:146] offset0:36 offset1:196
	;; [unrolled: 1-line block ×5, first 2 shown]
.LBB0_13:
	s_wait_alu 0xfffe
	s_or_b32 exec_lo, exec_lo, s2
	global_wb scope:SCOPE_SE
	s_wait_dscnt 0x0
	s_barrier_signal -1
	s_barrier_wait -1
	global_inv scope:SCOPE_SE
	ds_load_2addr_b64 v[68:71], v129 offset1:160
	ds_load_2addr_b64 v[96:99], v75 offset0:64 offset1:224
	ds_load_2addr_b64 v[92:95], v74 offset1:160
	ds_load_2addr_b64 v[88:91], v73 offset0:64 offset1:224
	ds_load_2addr_b64 v[72:75], v72 offset1:160
	s_and_saveexec_b32 s0, vcc_lo
	s_cbranch_execz .LBB0_15
; %bb.14:
	v_add_nc_u32_e32 v60, 0x200, v129
	v_add_nc_u32_e32 v64, 0xc00, v129
	;; [unrolled: 1-line block ×5, first 2 shown]
	ds_load_2addr_b64 v[60:63], v60 offset0:36 offset1:196
	ds_load_2addr_b64 v[76:79], v64 offset0:36 offset1:196
	;; [unrolled: 1-line block ×5, first 2 shown]
.LBB0_15:
	s_wait_alu 0xfffe
	s_or_b32 exec_lo, exec_lo, s0
	s_wait_dscnt 0x1
	v_dual_add_f32 v137, v92, v88 :: v_dual_sub_f32 v140, v93, v89
	s_wait_dscnt 0x0
	v_dual_add_f32 v138, v68, v96 :: v_dual_sub_f32 v139, v97, v73
	v_sub_f32_e32 v144, v92, v96
	s_delay_alu instid0(VALU_DEP_3)
	v_fma_f32 v137, -0.5, v137, v68
	v_sub_f32_e32 v141, v96, v92
	v_sub_f32_e32 v142, v72, v88
	global_wb scope:SCOPE_SE
	s_barrier_signal -1
	v_fmamk_f32 v152, v139, 0xbf737871, v137
	v_dual_fmac_f32 v137, 0x3f737871, v139 :: v_dual_add_f32 v138, v138, v92
	v_add_f32_e32 v141, v141, v142
	s_barrier_wait -1
	s_delay_alu instid0(VALU_DEP_3)
	v_fmac_f32_e32 v152, 0xbf167918, v140
	v_add_f32_e32 v143, v96, v72
	v_dual_add_f32 v138, v138, v88 :: v_dual_add_f32 v145, v93, v89
	global_inv scope:SCOPE_SE
	v_fmac_f32_e32 v152, 0x3e9e377a, v141
	v_fma_f32 v68, -0.5, v143, v68
	v_add_f32_e32 v143, v69, v97
	v_fmac_f32_e32 v137, 0x3f167918, v140
	v_sub_f32_e32 v142, v88, v72
	v_sub_f32_e32 v88, v92, v88
	;; [unrolled: 1-line block ×3, first 2 shown]
	v_fmamk_f32 v154, v140, 0x3f737871, v68
	v_fmac_f32_e32 v137, 0x3e9e377a, v141
	v_dual_sub_f32 v141, v73, v89 :: v_dual_fmac_f32 v68, 0xbf737871, v140
	v_fma_f32 v160, -0.5, v145, v69
	v_add_f32_e32 v138, v138, v72
	v_add_f32_e32 v142, v144, v142
	s_delay_alu instid0(VALU_DEP_4) | instskip(SKIP_3) | instid1(VALU_DEP_3)
	v_dual_add_f32 v92, v92, v141 :: v_dual_sub_f32 v141, v74, v90
	v_add_f32_e32 v140, v143, v93
	v_dual_sub_f32 v93, v93, v97 :: v_dual_sub_f32 v72, v96, v72
	v_fmac_f32_e32 v154, 0xbf167918, v139
	v_dual_sub_f32 v161, v87, v83 :: v_dual_add_f32 v96, v140, v89
	v_dual_add_f32 v140, v97, v73 :: v_dual_sub_f32 v97, v98, v94
	s_delay_alu instid0(VALU_DEP_1) | instskip(NEXT) | instid1(VALU_DEP_2)
	v_fma_f32 v69, -0.5, v140, v69
	v_add_f32_e32 v97, v97, v141
	s_delay_alu instid0(VALU_DEP_2) | instskip(SKIP_3) | instid1(VALU_DEP_2)
	v_dual_sub_f32 v141, v94, v98 :: v_dual_fmamk_f32 v140, v88, 0xbf737871, v69
	v_dual_fmac_f32 v69, 0x3f737871, v88 :: v_dual_add_f32 v96, v96, v73
	v_sub_f32_e32 v73, v89, v73
	v_dual_add_f32 v89, v94, v90 :: v_dual_fmac_f32 v68, 0x3f167918, v139
	v_add_f32_e32 v73, v93, v73
	v_fmamk_f32 v139, v72, 0x3f737871, v160
	v_fmac_f32_e32 v160, 0xbf737871, v72
	s_delay_alu instid0(VALU_DEP_4)
	v_fmac_f32_e32 v68, 0x3e9e377a, v142
	v_fmac_f32_e32 v140, 0x3f167918, v72
	v_fma_f32 v89, -0.5, v89, v70
	v_fmac_f32_e32 v139, 0x3f167918, v88
	v_dual_sub_f32 v93, v99, v75 :: v_dual_fmac_f32 v160, 0xbf167918, v88
	v_dual_add_f32 v88, v70, v98 :: v_dual_fmac_f32 v69, 0xbf167918, v72
	v_fmac_f32_e32 v140, 0x3e9e377a, v73
	s_delay_alu instid0(VALU_DEP_2)
	v_dual_add_f32 v72, v88, v94 :: v_dual_fmac_f32 v69, 0x3e9e377a, v73
	v_dual_add_f32 v73, v95, v91 :: v_dual_fmac_f32 v154, 0x3e9e377a, v142
	v_dual_fmac_f32 v139, 0x3e9e377a, v92 :: v_dual_add_f32 v142, v98, v74
	v_fmac_f32_e32 v160, 0x3e9e377a, v92
	v_fmamk_f32 v88, v93, 0xbf737871, v89
	v_dual_fmac_f32 v89, 0x3f737871, v93 :: v_dual_add_f32 v72, v72, v90
	s_delay_alu instid0(VALU_DEP_4)
	v_fma_f32 v70, -0.5, v142, v70
	v_sub_f32_e32 v142, v90, v74
	v_sub_f32_e32 v90, v94, v90
	;; [unrolled: 1-line block ×3, first 2 shown]
	v_fma_f32 v73, -0.5, v73, v71
	v_add_f32_e32 v94, v71, v99
	s_delay_alu instid0(VALU_DEP_3) | instskip(SKIP_1) | instid1(VALU_DEP_2)
	v_fmac_f32_e32 v88, 0xbf167918, v92
	v_fmac_f32_e32 v89, 0x3f167918, v92
	;; [unrolled: 1-line block ×3, first 2 shown]
	s_delay_alu instid0(VALU_DEP_2) | instskip(SKIP_3) | instid1(VALU_DEP_3)
	v_fmac_f32_e32 v89, 0x3e9e377a, v97
	v_fmamk_f32 v97, v92, 0x3f737871, v70
	v_fmac_f32_e32 v70, 0xbf737871, v92
	v_dual_add_f32 v92, v141, v142 :: v_dual_sub_f32 v141, v91, v75
	v_fmac_f32_e32 v97, 0xbf167918, v93
	s_delay_alu instid0(VALU_DEP_3) | instskip(NEXT) | instid1(VALU_DEP_2)
	v_dual_fmac_f32 v70, 0x3f167918, v93 :: v_dual_add_f32 v93, v99, v75
	v_fmac_f32_e32 v97, 0x3e9e377a, v92
	s_delay_alu instid0(VALU_DEP_2) | instskip(SKIP_3) | instid1(VALU_DEP_4)
	v_dual_fmac_f32 v70, 0x3e9e377a, v92 :: v_dual_fmac_f32 v71, -0.5, v93
	v_sub_f32_e32 v92, v99, v95
	v_dual_sub_f32 v99, v95, v99 :: v_dual_add_f32 v72, v72, v74
	v_dual_sub_f32 v74, v98, v74 :: v_dual_sub_f32 v93, v75, v91
	v_fmamk_f32 v142, v90, 0xbf737871, v71
	v_fmac_f32_e32 v71, 0x3f737871, v90
	s_delay_alu instid0(VALU_DEP_3) | instskip(SKIP_1) | instid1(VALU_DEP_4)
	v_fmamk_f32 v98, v74, 0x3f737871, v73
	v_fmac_f32_e32 v73, 0xbf737871, v74
	v_fmac_f32_e32 v142, 0x3f167918, v74
	s_delay_alu instid0(VALU_DEP_4) | instskip(NEXT) | instid1(VALU_DEP_3)
	v_dual_fmac_f32 v71, 0xbf167918, v74 :: v_dual_add_f32 v74, v94, v95
	v_dual_fmac_f32 v73, 0xbf167918, v90 :: v_dual_add_f32 v92, v92, v93
	s_delay_alu instid0(VALU_DEP_2) | instskip(SKIP_2) | instid1(VALU_DEP_3)
	v_dual_add_f32 v93, v99, v141 :: v_dual_add_f32 v74, v74, v91
	v_sub_f32_e32 v151, v138, v72
	v_add_f32_e32 v141, v138, v72
	v_dual_sub_f32 v99, v83, v87 :: v_dual_fmac_f32 v142, 0x3e9e377a, v93
	v_fmac_f32_e32 v71, 0x3e9e377a, v93
	s_delay_alu instid0(VALU_DEP_2) | instskip(SKIP_2) | instid1(VALU_DEP_3)
	v_mul_f32_e32 v91, 0xbf737871, v142
	v_fmac_f32_e32 v73, 0x3e9e377a, v92
	v_mul_f32_e32 v93, 0x3f167918, v88
	v_fmac_f32_e32 v91, 0x3e9e377a, v97
	s_delay_alu instid0(VALU_DEP_1) | instskip(NEXT) | instid1(VALU_DEP_4)
	v_add_f32_e32 v145, v154, v91
	v_dual_add_f32 v74, v74, v75 :: v_dual_mul_f32 v75, 0xbf167918, v73
	v_mul_f32_e32 v73, 0xbf4f1bbd, v73
	v_sub_f32_e32 v155, v154, v91
	s_delay_alu instid0(VALU_DEP_3) | instskip(NEXT) | instid1(VALU_DEP_3)
	v_fmac_f32_e32 v75, 0xbf4f1bbd, v89
	v_dual_fmac_f32 v98, 0x3f167918, v90 :: v_dual_fmac_f32 v73, 0x3f167918, v89
	s_delay_alu instid0(VALU_DEP_1) | instskip(SKIP_3) | instid1(VALU_DEP_4)
	v_dual_add_f32 v149, v137, v75 :: v_dual_fmac_f32 v98, 0x3e9e377a, v92
	v_mul_f32_e32 v92, 0xbf737871, v71
	v_mul_f32_e32 v71, 0xbe9e377a, v71
	v_sub_f32_e32 v159, v137, v75
	v_dual_add_f32 v75, v80, v76 :: v_dual_mul_f32 v90, 0xbf167918, v98
	s_delay_alu instid0(VALU_DEP_4) | instskip(SKIP_4) | instid1(VALU_DEP_4)
	v_fmac_f32_e32 v92, 0xbe9e377a, v70
	v_mul_f32_e32 v94, 0x3e9e377a, v142
	v_fmac_f32_e32 v71, 0x3f737871, v70
	v_add_f32_e32 v142, v96, v74
	v_fmac_f32_e32 v90, 0x3f4f1bbd, v88
	v_dual_sub_f32 v157, v68, v92 :: v_dual_fmac_f32 v94, 0x3f737871, v97
	v_add_f32_e32 v147, v68, v92
	v_add_f32_e32 v70, v84, v64
	s_delay_alu instid0(VALU_DEP_4)
	v_add_f32_e32 v143, v152, v90
	v_dual_sub_f32 v153, v152, v90 :: v_dual_sub_f32 v68, v65, v85
	v_fma_f32 v90, -0.5, v75, v60
	v_dual_fmac_f32 v93, 0x3f4f1bbd, v98 :: v_dual_add_f32 v148, v69, v71
	v_sub_f32_e32 v158, v69, v71
	v_add_f32_e32 v69, v85, v65
	v_fma_f32 v88, -0.5, v70, v60
	v_dual_sub_f32 v70, v77, v81 :: v_dual_sub_f32 v71, v64, v76
	v_fmamk_f32 v91, v68, 0x3f737871, v90
	v_add_f32_e32 v150, v160, v73
	v_sub_f32_e32 v160, v160, v73
	v_sub_f32_e32 v73, v84, v80
	v_fmac_f32_e32 v90, 0xbf737871, v68
	v_dual_sub_f32 v152, v96, v74 :: v_dual_fmamk_f32 v89, v70, 0xbf737871, v88
	v_sub_f32_e32 v74, v80, v84
	v_sub_f32_e32 v154, v139, v93
	v_fmac_f32_e32 v88, 0x3f737871, v70
	v_fma_f32 v92, -0.5, v69, v61
	v_sub_f32_e32 v69, v76, v80
	v_dual_sub_f32 v72, v76, v64 :: v_dual_fmac_f32 v91, 0xbf167918, v70
	v_dual_add_f32 v71, v73, v71 :: v_dual_fmac_f32 v90, 0x3f167918, v70
	v_add_f32_e32 v97, v67, v87
	v_dual_add_f32 v144, v139, v93 :: v_dual_fmac_f32 v89, 0xbf167918, v68
	v_fmamk_f32 v93, v69, 0x3f737871, v92
	v_dual_sub_f32 v73, v81, v85 :: v_dual_add_f32 v72, v74, v72
	v_fmac_f32_e32 v91, 0x3e9e377a, v71
	v_dual_fmac_f32 v90, 0x3e9e377a, v71 :: v_dual_sub_f32 v71, v65, v77
	v_fmac_f32_e32 v88, 0x3f167918, v68
	v_dual_sub_f32 v68, v64, v84 :: v_dual_sub_f32 v75, v82, v86
	v_add_f32_e32 v70, v81, v77
	v_dual_add_f32 v146, v140, v94 :: v_dual_fmac_f32 v89, 0x3e9e377a, v72
	s_delay_alu instid0(VALU_DEP_3) | instskip(NEXT) | instid1(VALU_DEP_3)
	v_dual_sub_f32 v156, v140, v94 :: v_dual_fmac_f32 v93, 0x3f167918, v68
	v_fma_f32 v94, -0.5, v70, v61
	v_fma_f32 v140, -0.5, v97, v63
	v_sub_f32_e32 v97, v78, v82
	v_sub_f32_e32 v74, v78, v66
	v_fmac_f32_e32 v92, 0xbf737871, v69
	v_dual_fmamk_f32 v95, v68, 0xbf737871, v94 :: v_dual_sub_f32 v96, v86, v82
	v_dual_fmac_f32 v94, 0x3f737871, v68 :: v_dual_sub_f32 v137, v67, v79
	s_delay_alu instid0(VALU_DEP_3) | instskip(NEXT) | instid1(VALU_DEP_3)
	v_fmac_f32_e32 v92, 0xbf167918, v68
	v_fmac_f32_e32 v95, 0x3f167918, v69
	;; [unrolled: 1-line block ×3, first 2 shown]
	v_sub_f32_e32 v72, v77, v65
	v_dual_fmac_f32 v94, 0xbf167918, v69 :: v_dual_add_f32 v69, v82, v78
	s_delay_alu instid0(VALU_DEP_2) | instskip(NEXT) | instid1(VALU_DEP_2)
	v_dual_add_f32 v72, v73, v72 :: v_dual_sub_f32 v73, v67, v87
	v_fma_f32 v69, -0.5, v69, v62
	s_delay_alu instid0(VALU_DEP_2)
	v_dual_add_f32 v70, v66, v86 :: v_dual_fmac_f32 v93, 0x3e9e377a, v72
	v_fmac_f32_e32 v92, 0x3e9e377a, v72
	v_sub_f32_e32 v72, v85, v81
	ds_store_b128 v136, v[141:144]
	ds_store_b128 v136, v[145:148] offset:16
	ds_store_b128 v136, v[149:152] offset:32
	;; [unrolled: 1-line block ×4, first 2 shown]
	v_add_f32_e32 v71, v72, v71
	s_delay_alu instid0(VALU_DEP_1)
	v_fmac_f32_e32 v95, 0x3e9e377a, v71
	v_dual_fmac_f32 v94, 0x3e9e377a, v71 :: v_dual_add_f32 v71, v75, v74
	v_dual_sub_f32 v75, v66, v78 :: v_dual_fmamk_f32 v74, v73, 0x3f737871, v69
	v_fmac_f32_e32 v69, 0xbf737871, v73
	v_fma_f32 v68, -0.5, v70, v62
	v_sub_f32_e32 v70, v79, v83
	s_delay_alu instid0(VALU_DEP_4) | instskip(SKIP_1) | instid1(VALU_DEP_1)
	v_dual_add_f32 v75, v96, v75 :: v_dual_sub_f32 v98, v66, v86
	v_add_f32_e32 v96, v83, v79
	v_fma_f32 v139, -0.5, v96, v63
	v_sub_f32_e32 v96, v79, v67
	s_delay_alu instid0(VALU_DEP_1) | instskip(SKIP_1) | instid1(VALU_DEP_2)
	v_dual_fmamk_f32 v138, v98, 0xbf737871, v139 :: v_dual_add_f32 v99, v99, v96
	v_add_f32_e32 v96, v161, v137
	v_fmac_f32_e32 v138, 0x3f167918, v97
	s_delay_alu instid0(VALU_DEP_1) | instskip(SKIP_2) | instid1(VALU_DEP_2)
	v_fmac_f32_e32 v138, 0x3e9e377a, v96
	v_fmamk_f32 v72, v70, 0xbf737871, v68
	v_fmac_f32_e32 v68, 0x3f737871, v70
	v_fmac_f32_e32 v72, 0xbf167918, v73
	s_delay_alu instid0(VALU_DEP_2) | instskip(SKIP_3) | instid1(VALU_DEP_2)
	v_fmac_f32_e32 v68, 0x3f167918, v73
	v_fmamk_f32 v73, v97, 0x3f737871, v140
	v_fmac_f32_e32 v69, 0x3f167918, v70
	v_fmac_f32_e32 v74, 0xbf167918, v70
	;; [unrolled: 1-line block ×6, first 2 shown]
	s_delay_alu instid0(VALU_DEP_3) | instskip(NEXT) | instid1(VALU_DEP_3)
	v_fmac_f32_e32 v139, 0xbf167918, v97
	v_fmac_f32_e32 v73, 0x3e9e377a, v99
	s_delay_alu instid0(VALU_DEP_2) | instskip(SKIP_1) | instid1(VALU_DEP_3)
	v_fmac_f32_e32 v139, 0x3e9e377a, v96
	v_fmac_f32_e32 v140, 0xbf737871, v97
	v_mul_f32_e32 v96, 0xbf167918, v73
	v_mul_f32_e32 v97, 0xbf737871, v138
	;; [unrolled: 1-line block ×4, first 2 shown]
	v_fmac_f32_e32 v140, 0xbf167918, v98
	v_mul_f32_e32 v98, 0xbf737871, v139
	v_mul_f32_e32 v139, 0xbe9e377a, v139
	s_delay_alu instid0(VALU_DEP_3) | instskip(NEXT) | instid1(VALU_DEP_3)
	v_fmac_f32_e32 v140, 0x3e9e377a, v99
	v_fmac_f32_e32 v98, 0xbe9e377a, v69
	s_delay_alu instid0(VALU_DEP_3) | instskip(NEXT) | instid1(VALU_DEP_3)
	v_fmac_f32_e32 v139, 0x3f737871, v69
	v_mul_f32_e32 v99, 0xbf167918, v140
	s_delay_alu instid0(VALU_DEP_2) | instskip(NEXT) | instid1(VALU_DEP_1)
	v_dual_mul_f32 v140, 0xbf4f1bbd, v140 :: v_dual_sub_f32 v69, v94, v139
	v_fmac_f32_e32 v140, 0x3f167918, v68
	v_fmac_f32_e32 v74, 0x3e9e377a, v75
	s_delay_alu instid0(VALU_DEP_2) | instskip(NEXT) | instid1(VALU_DEP_2)
	v_dual_fmac_f32 v72, 0x3e9e377a, v71 :: v_dual_sub_f32 v71, v92, v140
	v_fmac_f32_e32 v97, 0x3e9e377a, v74
	s_delay_alu instid0(VALU_DEP_2)
	v_fmac_f32_e32 v96, 0x3f4f1bbd, v72
	v_fmac_f32_e32 v99, 0xbf4f1bbd, v68
	;; [unrolled: 1-line block ×4, first 2 shown]
	v_sub_f32_e32 v74, v91, v97
	v_sub_f32_e32 v72, v89, v96
	v_sub_f32_e32 v68, v90, v98
	v_dual_sub_f32 v70, v88, v99 :: v_dual_sub_f32 v73, v93, v137
	v_sub_f32_e32 v75, v95, v138
	s_and_saveexec_b32 s0, vcc_lo
	s_cbranch_execz .LBB0_17
; %bb.16:
	v_dual_add_f32 v61, v77, v61 :: v_dual_add_f32 v60, v76, v60
	v_dual_add_f32 v63, v79, v63 :: v_dual_add_f32 v62, v78, v62
	v_add_f32_e32 v79, v93, v137
	s_delay_alu instid0(VALU_DEP_3) | instskip(NEXT) | instid1(VALU_DEP_3)
	v_dual_add_f32 v61, v65, v61 :: v_dual_add_f32 v60, v64, v60
	v_dual_add_f32 v63, v67, v63 :: v_dual_add_f32 v62, v66, v62
	v_add_f32_e32 v67, v94, v139
	s_delay_alu instid0(VALU_DEP_3) | instskip(NEXT) | instid1(VALU_DEP_3)
	v_dual_add_f32 v61, v85, v61 :: v_dual_add_f32 v60, v84, v60
	v_dual_add_f32 v63, v87, v63 :: v_dual_add_f32 v62, v86, v62
	v_add_f32_e32 v78, v89, v96
	s_delay_alu instid0(VALU_DEP_3) | instskip(NEXT) | instid1(VALU_DEP_3)
	v_dual_add_f32 v64, v81, v61 :: v_dual_add_f32 v61, v92, v140
	v_add_f32_e32 v66, v83, v63
	v_add_f32_e32 v60, v80, v60
	;; [unrolled: 1-line block ×4, first 2 shown]
	v_lshl_add_u32 v80, v134, 3, v133
	v_sub_f32_e32 v63, v64, v66
	v_dual_add_f32 v77, v66, v64 :: v_dual_add_f32 v64, v91, v97
	v_sub_f32_e32 v62, v60, v76
	v_add_f32_e32 v76, v76, v60
	v_add_f32_e32 v66, v90, v98
	;; [unrolled: 1-line block ×3, first 2 shown]
	ds_store_b128 v80, v[76:79]
	ds_store_b128 v80, v[64:67] offset:16
	ds_store_b128 v80, v[60:63] offset:32
	;; [unrolled: 1-line block ×4, first 2 shown]
.LBB0_17:
	s_wait_alu 0xfffe
	s_or_b32 exec_lo, exec_lo, s0
	global_wb scope:SCOPE_SE
	s_wait_dscnt 0x0
	s_barrier_signal -1
	s_barrier_wait -1
	global_inv scope:SCOPE_SE
	ds_load_2addr_b64 v[60:63], v129 offset1:100
	v_add_nc_u32_e32 v65, 0x400, v129
	v_add_nc_u32_e32 v64, 0x800, v129
	ds_load_2addr_b64 v[76:79], v65 offset0:72 offset1:172
	ds_load_2addr_b64 v[80:83], v64 offset0:144 offset1:244
	v_add_nc_u32_e32 v67, 0x1000, v129
	v_add_nc_u32_e32 v88, 0x1800, v129
	ds_load_2addr_b64 v[84:87], v67 offset0:88 offset1:188
	ds_load_2addr_b64 v[88:91], v88 offset0:32 offset1:132
	v_add_nc_u32_e32 v65, 0x1c00, v129
	s_wait_dscnt 0x4
	v_dual_mul_f32 v67, v41, v63 :: v_dual_add_nc_u32 v66, 0x2800, v129
	v_dual_mul_f32 v41, v41, v62 :: v_dual_add_nc_u32 v96, 0x2400, v129
	s_wait_dscnt 0x3
	s_delay_alu instid0(VALU_DEP_2) | instskip(SKIP_1) | instid1(VALU_DEP_3)
	v_dual_fmac_f32 v67, v40, v62 :: v_dual_mul_f32 v62, v33, v79
	v_mul_f32_e32 v33, v33, v78
	v_fma_f32 v40, v40, v63, -v41
	s_wait_dscnt 0x2
	v_mul_f32_e32 v63, v35, v81
	v_dual_mul_f32 v35, v35, v80 :: v_dual_fmac_f32 v62, v32, v78
	v_fma_f32 v32, v32, v79, -v33
	v_mul_f32_e32 v33, v25, v83
	v_mul_f32_e32 v25, v25, v82
	v_fmac_f32_e32 v63, v34, v80
	v_fma_f32 v34, v34, v81, -v35
	v_mul_f32_e32 v41, v43, v77
	v_fmac_f32_e32 v33, v24, v82
	v_fma_f32 v24, v24, v83, -v25
	s_wait_dscnt 0x1
	v_mul_f32_e32 v25, v27, v84
	v_mul_f32_e32 v43, v43, v76
	s_delay_alu instid0(VALU_DEP_2) | instskip(SKIP_4) | instid1(VALU_DEP_3)
	v_fma_f32 v25, v26, v85, -v25
	v_mul_f32_e32 v35, v27, v85
	v_mul_f32_e32 v27, v17, v87
	;; [unrolled: 1-line block ×3, first 2 shown]
	s_wait_dscnt 0x0
	v_dual_fmac_f32 v35, v26, v84 :: v_dual_mul_f32 v26, v37, v90
	ds_load_2addr_b64 v[92:95], v65 offset0:104 offset1:204
	ds_load_2addr_b64 v[96:99], v96 offset0:48 offset1:148
	;; [unrolled: 1-line block ×3, first 2 shown]
	v_fmac_f32_e32 v27, v16, v86
	v_fma_f32 v16, v16, v87, -v17
	global_wb scope:SCOPE_SE
	s_wait_dscnt 0x0
	v_fma_f32 v26, v36, v91, -v26
	s_barrier_signal -1
	s_barrier_wait -1
	global_inv scope:SCOPE_SE
	v_sub_f32_e32 v26, v40, v26
	s_delay_alu instid0(VALU_DEP_1) | instskip(SKIP_2) | instid1(VALU_DEP_2)
	v_fma_f32 v40, v40, 2.0, -v26
	v_mul_f32_e32 v17, v37, v91
	v_mul_f32_e32 v37, v39, v92
	v_dual_fmac_f32 v17, v36, v90 :: v_dual_mul_f32 v36, v29, v95
	v_mul_f32_e32 v29, v29, v94
	v_fmac_f32_e32 v41, v42, v76
	v_fma_f32 v42, v42, v77, -v43
	v_fma_f32 v37, v38, v93, -v37
	v_fmac_f32_e32 v36, v28, v94
	v_fma_f32 v28, v28, v95, -v29
	v_mul_f32_e32 v43, v19, v89
	v_mul_f32_e32 v19, v19, v88
	v_sub_f32_e32 v37, v42, v37
	v_sub_f32_e32 v36, v62, v36
	;; [unrolled: 1-line block ×3, first 2 shown]
	v_fmac_f32_e32 v43, v18, v88
	v_fma_f32 v18, v18, v89, -v19
	v_mul_f32_e32 v19, v39, v93
	v_fma_f32 v62, v62, 2.0, -v36
	v_fma_f32 v32, v32, 2.0, -v28
	;; [unrolled: 1-line block ×3, first 2 shown]
	s_delay_alu instid0(VALU_DEP_4) | instskip(SKIP_2) | instid1(VALU_DEP_2)
	v_dual_sub_f32 v18, v61, v18 :: v_dual_fmac_f32 v19, v38, v92
	v_mul_f32_e32 v38, v31, v97
	v_mul_f32_e32 v31, v31, v96
	v_fmac_f32_e32 v38, v30, v96
	s_delay_alu instid0(VALU_DEP_2) | instskip(SKIP_3) | instid1(VALU_DEP_4)
	v_fma_f32 v29, v30, v97, -v31
	v_dual_mul_f32 v31, v126, v138 :: v_dual_mul_f32 v30, v23, v137
	v_mul_f32_e32 v23, v23, v136
	v_sub_f32_e32 v19, v41, v19
	v_sub_f32_e32 v29, v34, v29
	s_delay_alu instid0(VALU_DEP_4) | instskip(SKIP_4) | instid1(VALU_DEP_3)
	v_fma_f32 v31, v125, v139, -v31
	v_fmac_f32_e32 v30, v22, v136
	v_fma_f32 v22, v22, v137, -v23
	v_fma_f32 v41, v41, 2.0, -v19
	v_fma_f32 v34, v34, 2.0, -v29
	v_dual_sub_f32 v31, v16, v31 :: v_dual_sub_f32 v22, v25, v22
	s_delay_alu instid0(VALU_DEP_1) | instskip(SKIP_1) | instid1(VALU_DEP_3)
	v_fma_f32 v16, v16, 2.0, -v31
	v_add_f32_e32 v31, v36, v31
	v_fma_f32 v25, v25, 2.0, -v22
	v_add_f32_e32 v22, v19, v22
	s_delay_alu instid0(VALU_DEP_4)
	v_sub_f32_e32 v16, v32, v16
	v_sub_f32_e32 v23, v60, v43
	v_fma_f32 v36, v36, 2.0, -v31
	v_mul_f32_e32 v39, v21, v99
	v_fma_f32 v19, v19, 2.0, -v22
	v_fma_f32 v32, v32, 2.0, -v16
	;; [unrolled: 1-line block ×4, first 2 shown]
	v_fmac_f32_e32 v39, v20, v98
	s_delay_alu instid0(VALU_DEP_2) | instskip(SKIP_2) | instid1(VALU_DEP_3)
	v_sub_f32_e32 v34, v60, v34
	v_sub_f32_e32 v30, v35, v30
	;; [unrolled: 1-line block ×3, first 2 shown]
	v_fma_f32 v60, v60, 2.0, -v34
	s_delay_alu instid0(VALU_DEP_3) | instskip(NEXT) | instid1(VALU_DEP_3)
	v_fma_f32 v35, v35, 2.0, -v30
	v_fma_f32 v61, v63, 2.0, -v38
	v_sub_f32_e32 v38, v18, v38
	v_sub_f32_e32 v30, v37, v30
	s_delay_alu instid0(VALU_DEP_4) | instskip(SKIP_1) | instid1(VALU_DEP_4)
	v_sub_f32_e32 v35, v41, v35
	v_mul_f32_e32 v21, v21, v98
	v_fma_f32 v18, v18, 2.0, -v38
	s_delay_alu instid0(VALU_DEP_4) | instskip(SKIP_3) | instid1(VALU_DEP_4)
	v_fma_f32 v37, v37, 2.0, -v30
	v_fmamk_f32 v79, v30, 0x3f3504f3, v38
	v_sub_f32_e32 v78, v34, v35
	v_fma_f32 v20, v20, v99, -v21
	v_dual_mul_f32 v21, v126, v139 :: v_dual_fmamk_f32 v76, v37, 0xbf3504f3, v18
	v_sub_f32_e32 v17, v67, v17
	v_fma_f32 v41, v41, 2.0, -v35
	s_delay_alu instid0(VALU_DEP_3) | instskip(NEXT) | instid1(VALU_DEP_4)
	v_dual_sub_f32 v20, v24, v20 :: v_dual_fmac_f32 v21, v125, v138
	v_fmac_f32_e32 v76, 0xbf3504f3, v19
	s_delay_alu instid0(VALU_DEP_4) | instskip(SKIP_1) | instid1(VALU_DEP_4)
	v_fma_f32 v63, v67, 2.0, -v17
	v_fmac_f32_e32 v79, 0xbf3504f3, v22
	v_fma_f32 v24, v24, 2.0, -v20
	v_dual_add_f32 v20, v17, v20 :: v_dual_sub_f32 v21, v27, v21
	s_delay_alu instid0(VALU_DEP_3) | instskip(NEXT) | instid1(VALU_DEP_3)
	v_fma_f32 v83, v38, 2.0, -v79
	v_sub_f32_e32 v24, v40, v24
	s_delay_alu instid0(VALU_DEP_3) | instskip(NEXT) | instid1(VALU_DEP_4)
	v_fma_f32 v17, v17, 2.0, -v20
	v_fma_f32 v27, v27, 2.0, -v21
	v_sub_f32_e32 v21, v28, v21
	s_delay_alu instid0(VALU_DEP_4) | instskip(NEXT) | instid1(VALU_DEP_4)
	v_fma_f32 v40, v40, 2.0, -v24
	v_fmamk_f32 v80, v36, 0xbf3504f3, v17
	s_delay_alu instid0(VALU_DEP_3) | instskip(NEXT) | instid1(VALU_DEP_3)
	v_fma_f32 v28, v28, 2.0, -v21
	v_sub_f32_e32 v81, v40, v32
	s_delay_alu instid0(VALU_DEP_2) | instskip(NEXT) | instid1(VALU_DEP_1)
	v_dual_fmac_f32 v80, 0x3f3504f3, v28 :: v_dual_sub_f32 v39, v33, v39
	v_fma_f32 v33, v33, 2.0, -v39
	v_sub_f32_e32 v39, v26, v39
	s_delay_alu instid0(VALU_DEP_1) | instskip(SKIP_1) | instid1(VALU_DEP_2)
	v_fmamk_f32 v86, v21, 0x3f3504f3, v39
	v_fma_f32 v26, v26, 2.0, -v39
	v_dual_fmac_f32 v86, 0xbf3504f3, v31 :: v_dual_sub_f32 v33, v63, v33
	s_delay_alu instid0(VALU_DEP_2) | instskip(NEXT) | instid1(VALU_DEP_2)
	v_fmamk_f32 v82, v28, 0xbf3504f3, v26
	v_dual_add_f32 v84, v33, v16 :: v_dual_add_f32 v29, v23, v29
	v_fma_f32 v63, v63, 2.0, -v33
	s_delay_alu instid0(VALU_DEP_3) | instskip(NEXT) | instid1(VALU_DEP_3)
	v_dual_fmac_f32 v82, 0xbf3504f3, v36 :: v_dual_sub_f32 v25, v42, v25
	v_fmamk_f32 v77, v22, 0x3f3504f3, v29
	v_fma_f32 v23, v23, 2.0, -v29
	s_delay_alu instid0(VALU_DEP_3)
	v_fma_f32 v16, v26, 2.0, -v82
	v_fma_f32 v26, v39, 2.0, -v86
	v_sub_f32_e32 v61, v43, v61
	v_fmac_f32_e32 v77, 0x3f3504f3, v30
	v_sub_f32_e32 v27, v62, v27
	v_fmamk_f32 v67, v19, 0xbf3504f3, v23
	v_fma_f32 v42, v42, 2.0, -v25
	v_fma_f32 v43, v43, 2.0, -v61
	;; [unrolled: 1-line block ×4, first 2 shown]
	s_delay_alu instid0(VALU_DEP_4) | instskip(NEXT) | instid1(VALU_DEP_4)
	v_dual_fmac_f32 v67, 0x3f3504f3, v37 :: v_dual_sub_f32 v42, v60, v42
	v_sub_f32_e32 v41, v43, v41
	v_fma_f32 v29, v40, 2.0, -v81
	s_delay_alu instid0(VALU_DEP_4) | instskip(NEXT) | instid1(VALU_DEP_4)
	v_sub_f32_e32 v62, v63, v62
	v_fma_f32 v19, v23, 2.0, -v67
	v_fma_f32 v23, v18, 2.0, -v76
	;; [unrolled: 1-line block ×5, first 2 shown]
	v_fmamk_f32 v63, v31, 0x3f3504f3, v20
	v_fmamk_f32 v31, v16, 0xbf6c835e, v23
	s_delay_alu instid0(VALU_DEP_3) | instskip(NEXT) | instid1(VALU_DEP_3)
	v_dual_sub_f32 v29, v43, v29 :: v_dual_sub_f32 v28, v37, v18
	v_fmac_f32_e32 v63, 0x3f3504f3, v21
	s_delay_alu instid0(VALU_DEP_2) | instskip(NEXT) | instid1(VALU_DEP_2)
	v_fma_f32 v32, v37, 2.0, -v28
	v_fma_f32 v20, v20, 2.0, -v63
	s_delay_alu instid0(VALU_DEP_1) | instskip(NEXT) | instid1(VALU_DEP_1)
	v_fmamk_f32 v18, v20, 0xbec3ef15, v22
	v_fmac_f32_e32 v18, 0x3f6c835e, v26
	v_add_f32_e32 v60, v61, v25
	s_delay_alu instid0(VALU_DEP_2) | instskip(NEXT) | instid1(VALU_DEP_2)
	v_fma_f32 v38, v22, 2.0, -v18
	v_fma_f32 v25, v61, 2.0, -v60
	;; [unrolled: 1-line block ×4, first 2 shown]
	v_fmamk_f32 v22, v80, 0x3ec3ef15, v67
	s_delay_alu instid0(VALU_DEP_2) | instskip(SKIP_1) | instid1(VALU_DEP_3)
	v_fmamk_f32 v30, v34, 0xbf6c835e, v19
	v_fmac_f32_e32 v31, 0xbec3ef15, v34
	v_fmac_f32_e32 v22, 0x3f6c835e, v82
	s_delay_alu instid0(VALU_DEP_3) | instskip(NEXT) | instid1(VALU_DEP_3)
	v_fmac_f32_e32 v30, 0x3ec3ef15, v16
	v_fma_f32 v35, v23, 2.0, -v31
	v_fmamk_f32 v23, v82, 0x3ec3ef15, v76
	s_delay_alu instid0(VALU_DEP_3) | instskip(SKIP_4) | instid1(VALU_DEP_4)
	v_fma_f32 v34, v19, 2.0, -v30
	v_fmamk_f32 v19, v26, 0xbec3ef15, v83
	v_dual_fmamk_f32 v26, v63, 0x3f6c835e, v77 :: v_dual_sub_f32 v85, v24, v27
	v_fmamk_f32 v27, v86, 0x3f6c835e, v79
	v_fmac_f32_e32 v23, 0xbf6c835e, v80
	v_fmac_f32_e32 v19, 0xbf6c835e, v20
	s_delay_alu instid0(VALU_DEP_4) | instskip(SKIP_4) | instid1(VALU_DEP_4)
	v_fmac_f32_e32 v26, 0x3ec3ef15, v86
	v_fma_f32 v21, v33, 2.0, -v84
	v_fma_f32 v24, v24, 2.0, -v85
	v_dual_add_f32 v20, v41, v81 :: v_dual_fmac_f32 v27, 0xbec3ef15, v63
	v_fma_f32 v33, v43, 2.0, -v29
	v_fmamk_f32 v16, v21, 0xbf3504f3, v25
	s_delay_alu instid0(VALU_DEP_4)
	v_fmamk_f32 v17, v24, 0xbf3504f3, v61
	v_fma_f32 v39, v83, 2.0, -v19
	v_fma_f32 v40, v41, 2.0, -v20
	;; [unrolled: 1-line block ×3, first 2 shown]
	v_fmac_f32_e32 v16, 0x3f3504f3, v24
	v_fmamk_f32 v24, v84, 0x3f3504f3, v60
	v_fmac_f32_e32 v17, 0xbf3504f3, v21
	v_sub_f32_e32 v21, v42, v62
	v_fma_f32 v62, v77, 2.0, -v26
	v_fma_f32 v36, v25, 2.0, -v16
	v_fmamk_f32 v25, v85, 0x3f3504f3, v78
	v_fmac_f32_e32 v24, 0x3f3504f3, v85
	v_fma_f32 v37, v61, 2.0, -v17
	v_fma_f32 v41, v42, 2.0, -v21
	;; [unrolled: 1-line block ×3, first 2 shown]
	v_fmac_f32_e32 v25, 0xbf3504f3, v84
	v_add_nc_u32_e32 v67, 0x1400, v129
	v_fma_f32 v60, v60, 2.0, -v24
	v_fma_f32 v63, v79, 2.0, -v27
	s_delay_alu instid0(VALU_DEP_4)
	v_fma_f32 v61, v78, 2.0, -v25
	ds_store_2addr_b64 v135, v[32:33], v[34:35] offset1:10
	ds_store_2addr_b64 v135, v[36:37], v[38:39] offset0:20 offset1:30
	ds_store_2addr_b64 v135, v[40:41], v[42:43] offset0:40 offset1:50
	;; [unrolled: 1-line block ×7, first 2 shown]
	global_wb scope:SCOPE_SE
	s_wait_dscnt 0x0
	s_barrier_signal -1
	s_barrier_wait -1
	global_inv scope:SCOPE_SE
	ds_load_2addr_b64 v[28:31], v129 offset1:160
	ds_load_2addr_b64 v[60:63], v64 offset0:64 offset1:224
	ds_load_2addr_b64 v[40:43], v67 offset1:160
	ds_load_2addr_b64 v[36:39], v65 offset0:64 offset1:224
	ds_load_2addr_b64 v[32:35], v66 offset1:160
	s_and_saveexec_b32 s0, vcc_lo
	s_cbranch_execz .LBB0_19
; %bb.18:
	v_add_nc_u32_e32 v16, 0x200, v129
	v_add_nc_u32_e32 v20, 0xc00, v129
	;; [unrolled: 1-line block ×5, first 2 shown]
	ds_load_2addr_b64 v[16:19], v16 offset0:36 offset1:196
	ds_load_2addr_b64 v[20:23], v20 offset0:36 offset1:196
	;; [unrolled: 1-line block ×5, first 2 shown]
.LBB0_19:
	s_wait_alu 0xfffe
	s_or_b32 exec_lo, exec_lo, s0
	s_wait_dscnt 0x3
	v_dual_mul_f32 v76, v57, v31 :: v_dual_mul_f32 v77, v59, v61
	v_mul_f32_e32 v57, v57, v30
	s_delay_alu instid0(VALU_DEP_2) | instskip(NEXT) | instid1(VALU_DEP_3)
	v_dual_mul_f32 v59, v59, v60 :: v_dual_fmac_f32 v76, v56, v30
	v_dual_fmac_f32 v77, v58, v60 :: v_dual_mul_f32 v30, v53, v63
	s_delay_alu instid0(VALU_DEP_3)
	v_fma_f32 v31, v56, v31, -v57
	v_mul_f32_e32 v53, v53, v62
	s_wait_dscnt 0x2
	v_mul_f32_e32 v57, v55, v41
	v_mul_f32_e32 v55, v55, v40
	v_fma_f32 v56, v58, v61, -v59
	v_fmac_f32_e32 v30, v52, v62
	v_fma_f32 v52, v52, v63, -v53
	v_mul_f32_e32 v53, v49, v43
	v_fmac_f32_e32 v57, v54, v40
	v_fma_f32 v40, v54, v41, -v55
	v_mul_f32_e32 v41, v49, v42
	s_wait_dscnt 0x1
	v_mul_f32_e32 v49, v51, v37
	s_delay_alu instid0(VALU_DEP_1) | instskip(SKIP_3) | instid1(VALU_DEP_2)
	v_fmac_f32_e32 v49, v50, v36
	v_dual_fmac_f32 v53, v48, v42 :: v_dual_mul_f32 v42, v51, v36
	s_wait_dscnt 0x0
	v_mul_f32_e32 v36, v47, v32
	v_fma_f32 v37, v50, v37, -v42
	s_delay_alu instid0(VALU_DEP_2) | instskip(SKIP_1) | instid1(VALU_DEP_1)
	v_fma_f32 v36, v46, v33, -v36
	v_mul_f32_e32 v33, v47, v33
	v_dual_add_f32 v54, v40, v37 :: v_dual_fmac_f32 v33, v46, v32
	v_mul_f32_e32 v51, v45, v39
	s_delay_alu instid0(VALU_DEP_2) | instskip(NEXT) | instid1(VALU_DEP_2)
	v_fma_f32 v54, -0.5, v54, v29
	v_fmac_f32_e32 v51, v44, v38
	v_dual_mul_f32 v38, v45, v38 :: v_dual_add_f32 v45, v28, v77
	s_delay_alu instid0(VALU_DEP_1) | instskip(SKIP_1) | instid1(VALU_DEP_3)
	v_fma_f32 v38, v44, v39, -v38
	v_sub_f32_e32 v44, v40, v37
	v_add_f32_e32 v32, v45, v57
	v_add_f32_e32 v42, v57, v49
	v_sub_f32_e32 v45, v77, v57
	v_sub_f32_e32 v46, v33, v49
	s_delay_alu instid0(VALU_DEP_4) | instskip(SKIP_4) | instid1(VALU_DEP_3)
	v_add_f32_e32 v32, v32, v49
	v_fma_f32 v41, v48, v43, -v41
	v_dual_mul_f32 v43, v128, v35 :: v_dual_add_f32 v48, v77, v33
	v_fma_f32 v47, -0.5, v42, v28
	v_dual_sub_f32 v42, v56, v36 :: v_dual_add_f32 v45, v45, v46
	v_fma_f32 v46, -0.5, v48, v28
	s_delay_alu instid0(VALU_DEP_2) | instskip(SKIP_2) | instid1(VALU_DEP_4)
	v_dual_add_f32 v48, v32, v33 :: v_dual_fmamk_f32 v39, v42, 0xbf737871, v47
	v_dual_sub_f32 v32, v57, v77 :: v_dual_fmac_f32 v43, v127, v34
	v_mul_f32_e32 v34, v128, v34
	v_fmamk_f32 v50, v44, 0x3f737871, v46
	v_fmac_f32_e32 v46, 0xbf737871, v44
	s_delay_alu instid0(VALU_DEP_3)
	v_fma_f32 v28, v127, v35, -v34
	v_sub_f32_e32 v34, v49, v33
	v_sub_f32_e32 v33, v77, v33
	v_add_f32_e32 v35, v29, v56
	v_fmac_f32_e32 v47, 0x3f737871, v42
	v_fmac_f32_e32 v50, 0xbf167918, v42
	v_add_f32_e32 v32, v32, v34
	v_fmac_f32_e32 v46, 0x3f167918, v42
	v_add_f32_e32 v34, v35, v40
	v_fmac_f32_e32 v39, 0xbf167918, v44
	v_fmac_f32_e32 v47, 0x3f167918, v44
	v_dual_add_f32 v35, v56, v36 :: v_dual_sub_f32 v42, v57, v49
	s_delay_alu instid0(VALU_DEP_4) | instskip(NEXT) | instid1(VALU_DEP_4)
	v_add_f32_e32 v34, v34, v37
	v_dual_fmac_f32 v39, 0x3e9e377a, v45 :: v_dual_fmac_f32 v50, 0x3e9e377a, v32
	s_delay_alu instid0(VALU_DEP_4)
	v_dual_fmac_f32 v47, 0x3e9e377a, v45 :: v_dual_fmac_f32 v46, 0x3e9e377a, v32
	v_dual_sub_f32 v44, v56, v40 :: v_dual_fmamk_f32 v45, v33, 0x3f737871, v54
	v_sub_f32_e32 v32, v40, v56
	v_sub_f32_e32 v49, v36, v37
	v_fma_f32 v55, -0.5, v35, v29
	v_dual_fmac_f32 v54, 0xbf737871, v33 :: v_dual_add_f32 v57, v34, v36
	s_delay_alu instid0(VALU_DEP_3) | instskip(NEXT) | instid1(VALU_DEP_3)
	v_dual_sub_f32 v34, v37, v36 :: v_dual_add_f32 v29, v44, v49
	v_fmamk_f32 v49, v42, 0xbf737871, v55
	s_delay_alu instid0(VALU_DEP_3)
	v_fmac_f32_e32 v54, 0xbf167918, v42
	v_add_f32_e32 v35, v76, v30
	v_fmac_f32_e32 v55, 0x3f737871, v42
	v_add_f32_e32 v32, v32, v34
	v_sub_f32_e32 v36, v53, v30
	v_fmac_f32_e32 v54, 0x3e9e377a, v29
	v_dual_fmac_f32 v45, 0x3f167918, v42 :: v_dual_add_f32 v34, v35, v53
	v_fmac_f32_e32 v55, 0xbf167918, v33
	v_add_f32_e32 v35, v53, v51
	s_delay_alu instid0(VALU_DEP_3) | instskip(NEXT) | instid1(VALU_DEP_4)
	v_dual_sub_f32 v44, v51, v43 :: v_dual_fmac_f32 v45, 0x3e9e377a, v29
	v_add_f32_e32 v29, v34, v51
	v_dual_add_f32 v34, v30, v43 :: v_dual_fmac_f32 v49, 0x3f167918, v33
	v_fmac_f32_e32 v55, 0x3e9e377a, v32
	v_fma_f32 v33, -0.5, v35, v76
	s_delay_alu instid0(VALU_DEP_3) | instskip(SKIP_3) | instid1(VALU_DEP_2)
	v_dual_fmac_f32 v76, -0.5, v34 :: v_dual_fmac_f32 v49, 0x3e9e377a, v32
	v_sub_f32_e32 v34, v43, v51
	v_sub_f32_e32 v32, v30, v53
	;; [unrolled: 1-line block ×3, first 2 shown]
	v_add_f32_e32 v32, v32, v34
	v_add_f32_e32 v34, v36, v44
	;; [unrolled: 1-line block ×3, first 2 shown]
	v_sub_f32_e32 v29, v41, v38
	v_dual_sub_f32 v35, v52, v28 :: v_dual_sub_f32 v36, v53, v51
	v_sub_f32_e32 v51, v41, v52
	s_delay_alu instid0(VALU_DEP_3) | instskip(NEXT) | instid1(VALU_DEP_1)
	v_fmamk_f32 v42, v29, 0x3f737871, v76
	v_fmac_f32_e32 v42, 0xbf167918, v35
	v_dual_fmamk_f32 v37, v35, 0xbf737871, v33 :: v_dual_fmac_f32 v76, 0xbf737871, v29
	v_fmac_f32_e32 v33, 0x3f737871, v35
	s_delay_alu instid0(VALU_DEP_3) | instskip(NEXT) | instid1(VALU_DEP_3)
	v_fmac_f32_e32 v42, 0x3e9e377a, v34
	v_fmac_f32_e32 v37, 0xbf167918, v29
	s_delay_alu instid0(VALU_DEP_3) | instskip(SKIP_2) | instid1(VALU_DEP_3)
	v_dual_fmac_f32 v76, 0x3f167918, v35 :: v_dual_fmac_f32 v33, 0x3f167918, v29
	v_add_f32_e32 v29, v41, v38
	v_add_f32_e32 v35, v31, v52
	v_dual_fmac_f32 v37, 0x3e9e377a, v32 :: v_dual_fmac_f32 v76, 0x3e9e377a, v34
	s_delay_alu instid0(VALU_DEP_4) | instskip(SKIP_2) | instid1(VALU_DEP_2)
	v_fmac_f32_e32 v33, 0x3e9e377a, v32
	v_add_f32_e32 v32, v52, v28
	v_fma_f32 v29, -0.5, v29, v31
	v_dual_sub_f32 v34, v28, v38 :: v_dual_fmac_f32 v31, -0.5, v32
	s_delay_alu instid0(VALU_DEP_2) | instskip(SKIP_1) | instid1(VALU_DEP_3)
	v_dual_sub_f32 v32, v52, v41 :: v_dual_fmamk_f32 v43, v30, 0x3f737871, v29
	v_fmac_f32_e32 v29, 0xbf737871, v30
	v_fmamk_f32 v44, v36, 0xbf737871, v31
	v_fmac_f32_e32 v31, 0x3f737871, v36
	v_sub_f32_e32 v52, v38, v28
	v_dual_add_f32 v32, v32, v34 :: v_dual_fmac_f32 v43, 0x3f167918, v36
	s_delay_alu instid0(VALU_DEP_4) | instskip(NEXT) | instid1(VALU_DEP_3)
	v_fmac_f32_e32 v44, 0x3f167918, v30
	v_dual_fmac_f32 v31, 0xbf167918, v30 :: v_dual_add_f32 v34, v51, v52
	v_dual_add_f32 v30, v35, v41 :: v_dual_fmac_f32 v29, 0xbf167918, v36
	s_delay_alu instid0(VALU_DEP_2) | instskip(NEXT) | instid1(VALU_DEP_3)
	v_dual_fmac_f32 v43, 0x3e9e377a, v32 :: v_dual_fmac_f32 v44, 0x3e9e377a, v34
	v_fmac_f32_e32 v31, 0x3e9e377a, v34
	s_delay_alu instid0(VALU_DEP_3) | instskip(NEXT) | instid1(VALU_DEP_3)
	v_dual_add_f32 v30, v30, v38 :: v_dual_fmac_f32 v29, 0x3e9e377a, v32
	v_dual_mul_f32 v41, 0xbf167918, v43 :: v_dual_sub_f32 v38, v48, v40
	s_delay_alu instid0(VALU_DEP_2) | instskip(SKIP_2) | instid1(VALU_DEP_3)
	v_dual_mul_f32 v56, 0xbf167918, v29 :: v_dual_add_f32 v53, v30, v28
	v_add_f32_e32 v28, v48, v40
	v_dual_mul_f32 v51, 0xbf737871, v44 :: v_dual_mul_f32 v52, 0xbf737871, v31
	v_fmac_f32_e32 v56, 0xbf4f1bbd, v33
	v_mul_f32_e32 v43, 0x3f4f1bbd, v43
	v_mul_f32_e32 v59, 0xbe9e377a, v31
	;; [unrolled: 1-line block ×3, first 2 shown]
	v_fmac_f32_e32 v52, 0xbe9e377a, v76
	v_dual_fmac_f32 v51, 0x3e9e377a, v42 :: v_dual_add_f32 v36, v47, v56
	v_fmac_f32_e32 v43, 0x3f167918, v37
	v_fmac_f32_e32 v59, 0x3f737871, v76
	s_delay_alu instid0(VALU_DEP_4) | instskip(NEXT) | instid1(VALU_DEP_4)
	v_dual_add_f32 v34, v46, v52 :: v_dual_fmac_f32 v41, 0x3f4f1bbd, v37
	v_add_f32_e32 v32, v50, v51
	s_delay_alu instid0(VALU_DEP_4) | instskip(NEXT) | instid1(VALU_DEP_4)
	v_add_f32_e32 v31, v45, v43
	v_dual_add_f32 v35, v55, v59 :: v_dual_sub_f32 v44, v46, v52
	s_delay_alu instid0(VALU_DEP_4) | instskip(SKIP_4) | instid1(VALU_DEP_3)
	v_add_f32_e32 v30, v39, v41
	v_mul_f32_e32 v60, 0xbf4f1bbd, v29
	v_dual_add_f32 v29, v57, v53 :: v_dual_fmac_f32 v58, 0x3f737871, v42
	v_sub_f32_e32 v40, v39, v41
	v_dual_sub_f32 v42, v50, v51 :: v_dual_sub_f32 v39, v57, v53
	v_dual_fmac_f32 v60, 0x3f167918, v33 :: v_dual_add_f32 v33, v49, v58
	v_dual_sub_f32 v46, v47, v56 :: v_dual_sub_f32 v41, v45, v43
	v_sub_f32_e32 v43, v49, v58
	s_delay_alu instid0(VALU_DEP_3)
	v_add_f32_e32 v37, v54, v60
	v_sub_f32_e32 v45, v55, v59
	v_sub_f32_e32 v47, v54, v60
	ds_store_2addr_b64 v129, v[28:29], v[30:31] offset1:160
	ds_store_2addr_b64 v64, v[32:33], v[34:35] offset0:64 offset1:224
	ds_store_2addr_b64 v67, v[36:37], v[38:39] offset1:160
	ds_store_2addr_b64 v65, v[40:41], v[42:43] offset0:64 offset1:224
	ds_store_2addr_b64 v66, v[44:45], v[46:47] offset1:160
	s_and_saveexec_b32 s0, vcc_lo
	s_cbranch_execz .LBB0_21
; %bb.20:
	v_mul_f32_e32 v31, v11, v68
	v_mul_f32_e32 v32, v7, v21
	;; [unrolled: 1-line block ×5, first 2 shown]
	s_delay_alu instid0(VALU_DEP_4) | instskip(NEXT) | instid1(VALU_DEP_4)
	v_dual_mul_f32 v15, v15, v73 :: v_dual_fmac_f32 v32, v6, v20
	v_fmac_f32_e32 v11, v10, v68
	v_mul_f32_e32 v28, v3, v24
	v_fma_f32 v21, v6, v21, -v30
	v_fma_f32 v30, v10, v69, -v31
	v_mul_f32_e32 v31, v1, v23
	s_delay_alu instid0(VALU_DEP_4) | instskip(SKIP_2) | instid1(VALU_DEP_3)
	v_fma_f32 v28, v2, v25, -v28
	v_mul_f32_e32 v1, v1, v22
	v_mul_f32_e32 v25, v3, v25
	v_dual_fmac_f32 v31, v0, v22 :: v_dual_sub_f32 v6, v21, v28
	s_delay_alu instid0(VALU_DEP_2) | instskip(SKIP_3) | instid1(VALU_DEP_3)
	v_dual_sub_f32 v38, v28, v21 :: v_dual_fmac_f32 v25, v2, v24
	v_mul_f32_e32 v2, v124, v71
	v_fma_f32 v29, v14, v73, -v29
	v_fma_f32 v0, v0, v23, -v1
	v_dual_mul_f32 v33, v13, v27 :: v_dual_fmac_f32 v2, v123, v70
	s_delay_alu instid0(VALU_DEP_3) | instskip(NEXT) | instid1(VALU_DEP_1)
	v_dual_add_f32 v7, v29, v28 :: v_dual_sub_f32 v10, v30, v29
	v_fma_f32 v20, -0.5, v7, v17
	v_mul_f32_e32 v7, v13, v26
	s_delay_alu instid0(VALU_DEP_3) | instskip(NEXT) | instid1(VALU_DEP_2)
	v_add_f32_e32 v6, v10, v6
	v_fma_f32 v7, v12, v27, -v7
	v_dual_fmac_f32 v15, v14, v72 :: v_dual_mul_f32 v14, v9, v75
	v_mul_f32_e32 v9, v9, v74
	v_sub_f32_e32 v3, v32, v11
	s_delay_alu instid0(VALU_DEP_4)
	v_sub_f32_e32 v22, v0, v7
	v_sub_f32_e32 v44, v7, v0
	v_fmac_f32_e32 v14, v8, v74
	v_fma_f32 v8, v8, v75, -v9
	v_mul_f32_e32 v9, v124, v70
	v_add_f32_e32 v37, v30, v21
	s_delay_alu instid0(VALU_DEP_4) | instskip(NEXT) | instid1(VALU_DEP_3)
	v_sub_f32_e32 v27, v2, v14
	v_fma_f32 v9, v123, v71, -v9
	s_delay_alu instid0(VALU_DEP_3) | instskip(NEXT) | instid1(VALU_DEP_2)
	v_fma_f32 v37, -0.5, v37, v17
	v_sub_f32_e32 v23, v9, v8
	v_mul_f32_e32 v13, v5, v19
	v_mul_f32_e32 v5, v5, v18
	s_delay_alu instid0(VALU_DEP_3) | instskip(NEXT) | instid1(VALU_DEP_3)
	v_add_f32_e32 v22, v23, v22
	v_fmac_f32_e32 v13, v4, v18
	s_delay_alu instid0(VALU_DEP_3) | instskip(SKIP_2) | instid1(VALU_DEP_1)
	v_fma_f32 v4, v4, v19, -v5
	v_sub_f32_e32 v19, v0, v9
	v_fmac_f32_e32 v33, v12, v26
	v_add_f32_e32 v12, v33, v14
	v_sub_f32_e32 v36, v25, v15
	s_delay_alu instid0(VALU_DEP_2) | instskip(NEXT) | instid1(VALU_DEP_2)
	v_fma_f32 v12, -0.5, v12, v13
	v_fmamk_f32 v48, v36, 0x3f737871, v37
	v_fmac_f32_e32 v37, 0xbf737871, v36
	s_delay_alu instid0(VALU_DEP_3) | instskip(SKIP_1) | instid1(VALU_DEP_4)
	v_fmamk_f32 v34, v19, 0x3f737871, v12
	v_dual_add_f32 v5, v7, v8 :: v_dual_sub_f32 v26, v33, v14
	v_fmac_f32_e32 v48, 0xbf167918, v3
	s_delay_alu instid0(VALU_DEP_2) | instskip(SKIP_1) | instid1(VALU_DEP_1)
	v_fma_f32 v18, -0.5, v5, v4
	v_sub_f32_e32 v5, v31, v2
	v_fmamk_f32 v24, v5, 0xbf737871, v18
	v_dual_sub_f32 v42, v33, v31 :: v_dual_sub_f32 v1, v31, v33
	v_dual_add_f32 v39, v9, v0 :: v_dual_add_f32 v40, v2, v31
	s_delay_alu instid0(VALU_DEP_3) | instskip(SKIP_2) | instid1(VALU_DEP_4)
	v_fmac_f32_e32 v24, 0xbf167918, v26
	v_fmac_f32_e32 v18, 0x3f737871, v5
	v_add_f32_e32 v0, v0, v4
	v_fma_f32 v39, -0.5, v39, v4
	s_delay_alu instid0(VALU_DEP_4) | instskip(SKIP_2) | instid1(VALU_DEP_4)
	v_dual_add_f32 v27, v27, v1 :: v_dual_fmac_f32 v24, 0x3e9e377a, v22
	v_fma_f32 v40, -0.5, v40, v13
	v_fmac_f32_e32 v12, 0xbf737871, v19
	v_fmamk_f32 v46, v26, 0x3f737871, v39
	v_fmac_f32_e32 v39, 0xbf737871, v26
	v_mul_f32_e32 v10, 0xbf4f1bbd, v24
	v_sub_f32_e32 v35, v7, v8
	v_add_f32_e32 v0, v7, v0
	v_fmac_f32_e32 v46, 0xbf167918, v5
	v_dual_fmac_f32 v39, 0x3f167918, v5 :: v_dual_fmac_f32 v18, 0x3f167918, v26
	s_delay_alu instid0(VALU_DEP_4) | instskip(NEXT) | instid1(VALU_DEP_4)
	v_dual_fmac_f32 v34, 0x3f167918, v35 :: v_dual_add_f32 v5, v21, v17
	v_add_f32_e32 v0, v8, v0
	v_dual_mul_f32 v24, 0xbf167918, v24 :: v_dual_add_f32 v13, v31, v13
	s_delay_alu instid0(VALU_DEP_3) | instskip(SKIP_2) | instid1(VALU_DEP_3)
	v_fmac_f32_e32 v34, 0x3e9e377a, v27
	v_fmac_f32_e32 v18, 0x3e9e377a, v22
	v_add_f32_e32 v4, v11, v32
	v_fmac_f32_e32 v10, 0x3f167918, v34
	v_sub_f32_e32 v41, v29, v30
	v_fmamk_f32 v47, v35, 0xbf737871, v40
	v_fmac_f32_e32 v40, 0x3f737871, v35
	v_fmamk_f32 v23, v3, 0xbf737871, v20
	v_sub_f32_e32 v43, v14, v2
	v_dual_add_f32 v38, v41, v38 :: v_dual_sub_f32 v45, v8, v9
	s_delay_alu instid0(VALU_DEP_3) | instskip(NEXT) | instid1(VALU_DEP_3)
	v_dual_fmac_f32 v40, 0xbf167918, v19 :: v_dual_fmac_f32 v23, 0xbf167918, v36
	v_dual_add_f32 v42, v43, v42 :: v_dual_fmac_f32 v47, 0x3f167918, v19
	s_delay_alu instid0(VALU_DEP_3) | instskip(NEXT) | instid1(VALU_DEP_3)
	v_dual_add_f32 v43, v45, v44 :: v_dual_fmac_f32 v48, 0x3e9e377a, v38
	v_fmac_f32_e32 v23, 0x3e9e377a, v6
	v_fmac_f32_e32 v20, 0x3f737871, v3
	;; [unrolled: 1-line block ×3, first 2 shown]
	s_delay_alu instid0(VALU_DEP_4) | instskip(NEXT) | instid1(VALU_DEP_4)
	v_fmac_f32_e32 v46, 0x3e9e377a, v43
	v_dual_add_f32 v22, v9, v0 :: v_dual_sub_f32 v1, v23, v10
	v_dual_add_f32 v0, v15, v25 :: v_dual_fmac_f32 v37, 0x3f167918, v3
	v_fmac_f32_e32 v20, 0x3f167918, v36
	s_delay_alu instid0(VALU_DEP_4) | instskip(SKIP_4) | instid1(VALU_DEP_4)
	v_mul_f32_e32 v41, 0xbe9e377a, v46
	v_add_f32_e32 v3, v28, v5
	v_dual_fmac_f32 v39, 0x3e9e377a, v43 :: v_dual_fmac_f32 v40, 0x3e9e377a, v42
	v_fmac_f32_e32 v47, 0x3e9e377a, v42
	v_dual_fmac_f32 v37, 0x3e9e377a, v38 :: v_dual_fmac_f32 v12, 0x3e9e377a, v27
	v_add_f32_e32 v3, v29, v3
	s_delay_alu instid0(VALU_DEP_4) | instskip(NEXT) | instid1(VALU_DEP_4)
	v_mul_f32_e32 v38, 0x3e9e377a, v39
	v_fmac_f32_e32 v41, 0x3f737871, v47
	v_mul_f32_e32 v17, 0x3f4f1bbd, v18
	s_delay_alu instid0(VALU_DEP_4) | instskip(NEXT) | instid1(VALU_DEP_3)
	v_dual_fmac_f32 v20, 0x3e9e377a, v6 :: v_dual_add_f32 v19, v30, v3
	v_dual_fmac_f32 v38, 0x3f737871, v40 :: v_dual_sub_f32 v3, v48, v41
	s_delay_alu instid0(VALU_DEP_3)
	v_fmac_f32_e32 v17, 0x3f167918, v12
	v_fma_f32 v26, -0.5, v0, v16
	v_sub_f32_e32 v0, v21, v30
	v_dual_sub_f32 v9, v19, v22 :: v_dual_sub_f32 v8, v28, v29
	v_fma_f32 v21, -0.5, v4, v16
	v_dual_sub_f32 v5, v37, v38 :: v_dual_sub_f32 v6, v32, v25
	v_dual_sub_f32 v7, v20, v17 :: v_dual_sub_f32 v4, v11, v15
	v_dual_fmamk_f32 v27, v0, 0x3f737871, v26 :: v_dual_sub_f32 v28, v25, v32
	s_delay_alu instid0(VALU_DEP_4) | instskip(NEXT) | instid1(VALU_DEP_3)
	v_dual_sub_f32 v29, v15, v11 :: v_dual_fmamk_f32 v30, v8, 0xbf737871, v21
	v_dual_fmac_f32 v21, 0x3f737871, v8 :: v_dual_add_f32 v4, v4, v6
	s_delay_alu instid0(VALU_DEP_3) | instskip(NEXT) | instid1(VALU_DEP_3)
	v_fmac_f32_e32 v27, 0x3f167918, v8
	v_add_f32_e32 v6, v29, v28
	s_delay_alu instid0(VALU_DEP_3) | instskip(SKIP_3) | instid1(VALU_DEP_3)
	v_dual_mul_f32 v18, 0xbf167918, v18 :: v_dual_fmac_f32 v21, 0xbf167918, v0
	v_add_f32_e32 v16, v32, v16
	v_fmac_f32_e32 v30, 0x3f167918, v0
	v_dual_fmac_f32 v26, 0xbf737871, v0 :: v_dual_add_f32 v17, v20, v17
	v_dual_add_f32 v19, v19, v22 :: v_dual_add_f32 v0, v25, v16
	v_mul_f32_e32 v16, 0xbf737871, v39
	s_delay_alu instid0(VALU_DEP_3)
	v_fmac_f32_e32 v26, 0xbf167918, v8
	v_mul_f32_e32 v28, 0xbf737871, v46
	v_fmac_f32_e32 v18, 0x3f4f1bbd, v12
	v_add_f32_e32 v0, v15, v0
	v_fmac_f32_e32 v24, 0xbf4f1bbd, v34
	v_fmac_f32_e32 v16, 0x3e9e377a, v40
	;; [unrolled: 1-line block ×3, first 2 shown]
	s_delay_alu instid0(VALU_DEP_4)
	v_dual_add_f32 v25, v11, v0 :: v_dual_add_nc_u32 v20, 0x200, v129
	v_add_f32_e32 v11, v23, v10
	v_dual_fmac_f32 v27, 0x3e9e377a, v4 :: v_dual_fmac_f32 v30, 0x3e9e377a, v6
	v_dual_fmac_f32 v21, 0x3e9e377a, v6 :: v_dual_add_f32 v6, v33, v13
	v_add_nc_u32_e32 v23, 0x2000, v129
	v_dual_add_f32 v13, v48, v41 :: v_dual_fmac_f32 v28, 0xbe9e377a, v47
	v_add_f32_e32 v15, v37, v38
	s_delay_alu instid0(VALU_DEP_4)
	v_add_f32_e32 v6, v14, v6
	v_sub_f32_e32 v4, v21, v16
	v_add_f32_e32 v14, v21, v16
	v_add_f32_e32 v16, v26, v18
	v_add_f32_e32 v12, v30, v28
	v_add_f32_e32 v29, v2, v6
	v_dual_sub_f32 v6, v26, v18 :: v_dual_add_nc_u32 v21, 0xc00, v129
	v_add_f32_e32 v10, v27, v24
	v_add_nc_u32_e32 v22, 0x1600, v129
	s_delay_alu instid0(VALU_DEP_4)
	v_add_f32_e32 v18, v25, v29
	v_sub_f32_e32 v8, v25, v29
	v_sub_f32_e32 v0, v27, v24
	v_sub_f32_e32 v2, v30, v28
	v_add_nc_u32_e32 v24, 0x2a00, v129
	ds_store_2addr_b64 v20, v[18:19], v[16:17] offset0:36 offset1:196
	ds_store_2addr_b64 v21, v[14:15], v[12:13] offset0:36 offset1:196
	;; [unrolled: 1-line block ×5, first 2 shown]
.LBB0_21:
	s_wait_alu 0xfffe
	s_or_b32 exec_lo, exec_lo, s0
	global_wb scope:SCOPE_SE
	s_wait_dscnt 0x0
	s_barrier_signal -1
	s_barrier_wait -1
	global_inv scope:SCOPE_SE
	ds_load_2addr_b64 v[0:3], v129 offset1:160
	v_add_nc_u32_e32 v4, 0x800, v129
	v_add_nc_u32_e32 v8, 0x1400, v129
	v_mad_co_u64_u32 v[16:17], null, s6, v102, 0
	v_mad_co_u64_u32 v[18:19], null, s4, v130, 0
	s_mov_b32 s2, 0x47ae147b
	s_mov_b32 s3, 0x3f447ae1
	s_mul_i32 s1, s5, 0xa00
	s_wait_dscnt 0x0
	v_mul_f32_e32 v21, v122, v0
	ds_load_2addr_b64 v[4:7], v4 offset0:64 offset1:224
	ds_load_2addr_b64 v[8:11], v8 offset1:160
	v_add_nc_u32_e32 v12, 0x1c00, v129
	v_mul_f32_e32 v20, v122, v1
	v_mul_f32_e32 v22, v120, v2
	v_add_nc_u32_e32 v28, 0x2800, v129
	v_mul_f32_e32 v24, v120, v3
	s_wait_dscnt 0x1
	v_mul_f32_e32 v31, v116, v6
	ds_load_2addr_b64 v[12:15], v12 offset0:64 offset1:224
	v_fmac_f32_e32 v20, v121, v0
	v_fma_f32 v0, v121, v1, -v21
	s_wait_dscnt 0x1
	v_mul_f32_e32 v33, v106, v9
	v_fma_f32 v1, v119, v3, -v22
	v_dual_fmac_f32 v24, v119, v2 :: v_dual_mul_f32 v35, v114, v11
	v_cvt_f64_f32_e32 v[22:23], v0
	v_mul_f32_e32 v34, v106, v8
	s_delay_alu instid0(VALU_DEP_4)
	v_cvt_f64_f32_e32 v[26:27], v1
	ds_load_2addr_b64 v[0:3], v28 offset1:160
	v_mad_co_u64_u32 v[28:29], null, s7, v102, v[17:18]
	v_mul_f32_e32 v17, v118, v5
	v_dual_mul_f32 v29, v118, v4 :: v_dual_mul_f32 v30, v116, v7
	v_fmac_f32_e32 v33, v105, v8
	v_fma_f32 v31, v115, v7, -v31
	s_delay_alu instid0(VALU_DEP_4) | instskip(NEXT) | instid1(VALU_DEP_4)
	v_fmac_f32_e32 v17, v117, v4
	v_fma_f32 v29, v117, v5, -v29
	s_wait_dscnt 0x1
	v_mul_f32_e32 v37, v110, v13
	v_cvt_f64_f32_e32 v[20:21], v20
	v_mul_f32_e32 v39, v112, v14
	v_cvt_f64_f32_e32 v[4:5], v17
	;; [unrolled: 2-line block ×3, first 2 shown]
	v_fma_f32 v34, v105, v9, -v34
	v_dual_fmac_f32 v30, v115, v6 :: v_dual_fmac_f32 v37, v109, v12
	v_cvt_f64_f32_e32 v[6:7], v29
	v_cvt_f64_f32_e32 v[31:32], v31
	s_wait_dscnt 0x0
	v_dual_mul_f32 v36, v114, v10 :: v_dual_mul_f32 v41, v104, v0
	v_cvt_f64_f32_e32 v[29:30], v30
	v_dual_mul_f32 v38, v110, v12 :: v_dual_mul_f32 v43, v108, v2
	v_dual_mul_f32 v40, v104, v1 :: v_dual_fmac_f32 v35, v113, v10
	s_delay_alu instid0(VALU_DEP_4) | instskip(SKIP_1) | instid1(VALU_DEP_3)
	v_fma_f32 v36, v113, v11, -v36
	v_dual_mul_f32 v42, v108, v3 :: v_dual_fmac_f32 v17, v111, v14
	v_fmac_f32_e32 v40, v103, v0
	v_fma_f32 v43, v107, v3, -v43
	s_mul_u64 s[6:7], s[4:5], 0xa0
	s_wait_alu 0xfffe
	v_mul_f64_e32 v[10:11], s[2:3], v[22:23]
	s_lshl_b64 s[6:7], s[6:7], 3
	v_mul_f64_e32 v[22:23], s[2:3], v[26:27]
	v_fma_f32 v26, v109, v13, -v38
	v_fma_f32 v38, v111, v15, -v39
	v_cvt_f64_f32_e32 v[12:13], v33
	v_cvt_f64_f32_e32 v[14:15], v34
	v_fma_f32 v39, v103, v1, -v41
	v_cvt_f64_f32_e32 v[26:27], v26
	v_cvt_f64_f32_e32 v[0:1], v35
	;; [unrolled: 1-line block ×3, first 2 shown]
	v_mov_b32_e32 v17, v28
	v_cvt_f64_f32_e32 v[43:44], v43
	v_mul_f64_e32 v[8:9], s[2:3], v[20:21]
	v_mul_f64_e32 v[4:5], s[2:3], v[4:5]
	s_delay_alu instid0(VALU_DEP_4)
	v_lshlrev_b64_e32 v[16:17], 3, v[16:17]
	v_mul_f64_e32 v[20:21], s[2:3], v[24:25]
	v_cvt_f64_f32_e32 v[24:25], v37
	v_mul_f64_e32 v[6:7], s[2:3], v[6:7]
	v_mul_f64_e32 v[31:32], s[2:3], v[31:32]
	;; [unrolled: 1-line block ×6, first 2 shown]
	v_cvt_f32_f64_e32 v8, v[8:9]
	v_cvt_f32_f64_e32 v9, v[10:11]
	;; [unrolled: 1-line block ×3, first 2 shown]
	v_mul_f64_e32 v[22:23], s[2:3], v[26:27]
	v_mad_co_u64_u32 v[45:46], null, s5, v130, v[19:20]
	v_fmac_f32_e32 v42, v107, v2
	v_cvt_f64_f32_e32 v[2:3], v36
	v_cvt_f64_f32_e32 v[35:36], v38
	;; [unrolled: 1-line block ×4, first 2 shown]
	v_cvt_f32_f64_e32 v10, v[20:21]
	v_mov_b32_e32 v19, v45
	v_cvt_f64_f32_e32 v[41:42], v42
	v_add_co_u32 v45, s0, s10, v16
	s_wait_alu 0xf1ff
	v_add_co_ci_u32_e64 v46, s0, s11, v17, s0
	v_mul_f64_e32 v[16:17], s[2:3], v[24:25]
	v_mul_f64_e32 v[24:25], s[2:3], v[33:34]
	v_lshlrev_b64_e32 v[18:19], 3, v[18:19]
	v_cvt_f32_f64_e32 v4, v[4:5]
	v_cvt_f32_f64_e32 v5, v[6:7]
	;; [unrolled: 1-line block ×4, first 2 shown]
	v_mad_co_u64_u32 v[20:21], null, s4, v131, 0
	v_add_co_u32 v18, s0, v45, v18
	s_wait_alu 0xf1ff
	v_add_co_ci_u32_e64 v19, s0, v46, v19, s0
	s_wait_alu 0xfffe
	s_delay_alu instid0(VALU_DEP_2) | instskip(SKIP_1) | instid1(VALU_DEP_2)
	v_add_co_u32 v28, s0, v18, s6
	s_wait_alu 0xf1ff
	v_add_co_ci_u32_e64 v29, s0, s7, v19, s0
	s_clause 0x1
	global_store_b64 v[18:19], v[8:9], off
	global_store_b64 v[28:29], v[10:11], off
	v_mul_f64_e32 v[2:3], s[2:3], v[2:3]
	v_mul_f64_e32 v[26:27], s[2:3], v[35:36]
	;; [unrolled: 1-line block ×6, first 2 shown]
	v_add_co_u32 v30, s0, v28, s6
	s_wait_alu 0xf1ff
	v_add_co_ci_u32_e64 v31, s0, s7, v29, s0
	v_cvt_f32_f64_e32 v10, v[12:13]
	s_delay_alu instid0(VALU_DEP_3)
	v_add_co_u32 v8, s0, v30, s6
	v_cvt_f32_f64_e32 v11, v[14:15]
	v_mad_co_u64_u32 v[12:13], null, s5, v131, v[21:22]
	v_cvt_f32_f64_e32 v13, v[0:1]
	s_wait_alu 0xf1ff
	v_add_co_ci_u32_e64 v9, s0, s7, v31, s0
	v_cvt_f32_f64_e32 v15, v[16:17]
	v_cvt_f32_f64_e32 v16, v[22:23]
	v_cvt_f32_f64_e32 v17, v[24:25]
	v_mad_co_u64_u32 v[0:1], null, s4, v132, 0
	s_clause 0x1
	global_store_b64 v[30:31], v[4:5], off
	global_store_b64 v[8:9], v[6:7], off
	v_mov_b32_e32 v21, v12
	v_cvt_f32_f64_e32 v14, v[2:3]
	v_cvt_f32_f64_e32 v18, v[26:27]
	v_mad_co_u64_u32 v[2:3], null, 0xa00, s4, v[8:9]
	v_cvt_f32_f64_e32 v22, v[33:34]
	v_cvt_f32_f64_e32 v23, v[35:36]
	;; [unrolled: 1-line block ×4, first 2 shown]
	v_lshlrev_b64_e32 v[7:8], 3, v[20:21]
	v_add_nc_u32_e32 v3, s1, v3
	v_mad_co_u64_u32 v[4:5], null, s5, v132, v[1:2]
	v_add_co_u32 v5, s0, v2, s6
	s_wait_alu 0xf1ff
	s_delay_alu instid0(VALU_DEP_3) | instskip(NEXT) | instid1(VALU_DEP_2)
	v_add_co_ci_u32_e64 v6, s0, s7, v3, s0
	v_add_co_u32 v19, s0, v5, s6
	s_wait_alu 0xf1ff
	s_delay_alu instid0(VALU_DEP_2) | instskip(SKIP_4) | instid1(VALU_DEP_3)
	v_add_co_ci_u32_e64 v20, s0, s7, v6, s0
	v_mov_b32_e32 v1, v4
	v_add_co_u32 v7, s0, v45, v7
	s_wait_alu 0xf1ff
	v_add_co_ci_u32_e64 v8, s0, v46, v8, s0
	v_lshlrev_b64_e32 v[26:27], 3, v[0:1]
	v_mad_co_u64_u32 v[0:1], null, 0xa00, s4, v[19:20]
	s_clause 0x1
	global_store_b64 v[7:8], v[10:11], off
	global_store_b64 v[2:3], v[13:14], off
	v_add_co_u32 v2, s0, v45, v26
	v_add_nc_u32_e32 v1, s1, v1
	s_wait_alu 0xf1ff
	v_add_co_ci_u32_e64 v3, s0, v46, v27, s0
	global_store_b64 v[5:6], v[15:16], off
	global_store_b64 v[19:20], v[17:18], off
	;; [unrolled: 1-line block ×4, first 2 shown]
	s_and_b32 exec_lo, exec_lo, vcc_lo
	s_cbranch_execz .LBB0_23
; %bb.22:
	global_load_b64 v[6:7], v[100:101], off offset:800
	v_add_nc_u32_e32 v2, 0x200, v129
	v_mad_co_u64_u32 v[0:1], null, 0xffffd620, s4, v[0:1]
	s_mul_i32 s0, s5, 0xffffd620
	ds_load_2addr_b64 v[2:5], v2 offset0:36 offset1:196
	s_wait_alu 0xfffe
	s_sub_co_i32 s0, s0, s4
	s_wait_loadcnt_dscnt 0x0
	s_wait_alu 0xfffe
	v_dual_mul_f32 v8, v3, v7 :: v_dual_add_nc_u32 v1, s0, v1
	v_mul_f32_e32 v7, v2, v7
	s_delay_alu instid0(VALU_DEP_2) | instskip(NEXT) | instid1(VALU_DEP_2)
	v_fmac_f32_e32 v8, v2, v6
	v_fma_f32 v6, v6, v3, -v7
	s_delay_alu instid0(VALU_DEP_2) | instskip(NEXT) | instid1(VALU_DEP_2)
	v_cvt_f64_f32_e32 v[2:3], v8
	v_cvt_f64_f32_e32 v[6:7], v6
	s_delay_alu instid0(VALU_DEP_2) | instskip(NEXT) | instid1(VALU_DEP_2)
	v_mul_f64_e32 v[2:3], s[2:3], v[2:3]
	v_mul_f64_e32 v[6:7], s[2:3], v[6:7]
	s_delay_alu instid0(VALU_DEP_2) | instskip(NEXT) | instid1(VALU_DEP_2)
	v_cvt_f32_f64_e32 v2, v[2:3]
	v_cvt_f32_f64_e32 v3, v[6:7]
	global_store_b64 v[0:1], v[2:3], off
	global_load_b64 v[2:3], v[100:101], off offset:2080
	s_wait_loadcnt 0x0
	v_mul_f32_e32 v6, v5, v3
	v_mul_f32_e32 v3, v4, v3
	s_delay_alu instid0(VALU_DEP_2) | instskip(NEXT) | instid1(VALU_DEP_2)
	v_fmac_f32_e32 v6, v4, v2
	v_fma_f32 v4, v2, v5, -v3
	s_delay_alu instid0(VALU_DEP_2) | instskip(NEXT) | instid1(VALU_DEP_2)
	v_cvt_f64_f32_e32 v[2:3], v6
	v_cvt_f64_f32_e32 v[4:5], v4
	s_delay_alu instid0(VALU_DEP_2) | instskip(NEXT) | instid1(VALU_DEP_2)
	v_mul_f64_e32 v[2:3], s[2:3], v[2:3]
	v_mul_f64_e32 v[4:5], s[2:3], v[4:5]
	s_delay_alu instid0(VALU_DEP_2) | instskip(NEXT) | instid1(VALU_DEP_2)
	v_cvt_f32_f64_e32 v2, v[2:3]
	v_cvt_f32_f64_e32 v3, v[4:5]
	v_add_co_u32 v4, vcc_lo, v0, s6
	s_wait_alu 0xfffd
	v_add_co_ci_u32_e32 v5, vcc_lo, s7, v1, vcc_lo
	v_add_nc_u32_e32 v0, 0xc00, v129
	global_store_b64 v[4:5], v[2:3], off
	global_load_b64 v[6:7], v[100:101], off offset:3360
	ds_load_2addr_b64 v[0:3], v0 offset0:36 offset1:196
	v_add_co_u32 v4, vcc_lo, v4, s6
	s_wait_alu 0xfffd
	v_add_co_ci_u32_e32 v5, vcc_lo, s7, v5, vcc_lo
	s_wait_loadcnt_dscnt 0x0
	v_mul_f32_e32 v8, v1, v7
	v_mul_f32_e32 v7, v0, v7
	s_delay_alu instid0(VALU_DEP_2) | instskip(NEXT) | instid1(VALU_DEP_2)
	v_fmac_f32_e32 v8, v0, v6
	v_fma_f32 v6, v6, v1, -v7
	s_delay_alu instid0(VALU_DEP_2) | instskip(NEXT) | instid1(VALU_DEP_2)
	v_cvt_f64_f32_e32 v[0:1], v8
	v_cvt_f64_f32_e32 v[6:7], v6
	s_delay_alu instid0(VALU_DEP_2) | instskip(NEXT) | instid1(VALU_DEP_2)
	v_mul_f64_e32 v[0:1], s[2:3], v[0:1]
	v_mul_f64_e32 v[6:7], s[2:3], v[6:7]
	s_delay_alu instid0(VALU_DEP_2) | instskip(NEXT) | instid1(VALU_DEP_2)
	v_cvt_f32_f64_e32 v0, v[0:1]
	v_cvt_f32_f64_e32 v1, v[6:7]
	global_store_b64 v[4:5], v[0:1], off
	global_load_b64 v[0:1], v[100:101], off offset:4640
	v_add_co_u32 v4, vcc_lo, v4, s6
	s_wait_alu 0xfffd
	v_add_co_ci_u32_e32 v5, vcc_lo, s7, v5, vcc_lo
	s_wait_loadcnt 0x0
	v_mul_f32_e32 v6, v3, v1
	v_mul_f32_e32 v1, v2, v1
	s_delay_alu instid0(VALU_DEP_2) | instskip(NEXT) | instid1(VALU_DEP_2)
	v_fmac_f32_e32 v6, v2, v0
	v_fma_f32 v2, v0, v3, -v1
	s_delay_alu instid0(VALU_DEP_2) | instskip(NEXT) | instid1(VALU_DEP_2)
	v_cvt_f64_f32_e32 v[0:1], v6
	v_cvt_f64_f32_e32 v[2:3], v2
	s_delay_alu instid0(VALU_DEP_2) | instskip(NEXT) | instid1(VALU_DEP_2)
	v_mul_f64_e32 v[0:1], s[2:3], v[0:1]
	v_mul_f64_e32 v[2:3], s[2:3], v[2:3]
	s_delay_alu instid0(VALU_DEP_2) | instskip(NEXT) | instid1(VALU_DEP_2)
	v_cvt_f32_f64_e32 v0, v[0:1]
	v_cvt_f32_f64_e32 v1, v[2:3]
	global_store_b64 v[4:5], v[0:1], off
	global_load_b64 v[6:7], v[100:101], off offset:5920
	v_add_nc_u32_e32 v0, 0x1600, v129
	v_add_co_u32 v4, vcc_lo, v4, s6
	s_wait_alu 0xfffd
	v_add_co_ci_u32_e32 v5, vcc_lo, s7, v5, vcc_lo
	ds_load_2addr_b64 v[0:3], v0 offset0:36 offset1:196
	s_wait_loadcnt_dscnt 0x0
	v_mul_f32_e32 v8, v1, v7
	v_mul_f32_e32 v7, v0, v7
	s_delay_alu instid0(VALU_DEP_2) | instskip(NEXT) | instid1(VALU_DEP_2)
	v_fmac_f32_e32 v8, v0, v6
	v_fma_f32 v6, v6, v1, -v7
	s_delay_alu instid0(VALU_DEP_2) | instskip(NEXT) | instid1(VALU_DEP_2)
	v_cvt_f64_f32_e32 v[0:1], v8
	v_cvt_f64_f32_e32 v[6:7], v6
	s_delay_alu instid0(VALU_DEP_2) | instskip(NEXT) | instid1(VALU_DEP_2)
	v_mul_f64_e32 v[0:1], s[2:3], v[0:1]
	v_mul_f64_e32 v[6:7], s[2:3], v[6:7]
	s_delay_alu instid0(VALU_DEP_2) | instskip(NEXT) | instid1(VALU_DEP_2)
	v_cvt_f32_f64_e32 v0, v[0:1]
	v_cvt_f32_f64_e32 v1, v[6:7]
	global_store_b64 v[4:5], v[0:1], off
	global_load_b64 v[0:1], v[100:101], off offset:7200
	v_add_co_u32 v4, vcc_lo, v4, s6
	s_wait_alu 0xfffd
	v_add_co_ci_u32_e32 v5, vcc_lo, s7, v5, vcc_lo
	s_wait_loadcnt 0x0
	v_mul_f32_e32 v6, v3, v1
	v_mul_f32_e32 v1, v2, v1
	s_delay_alu instid0(VALU_DEP_2) | instskip(NEXT) | instid1(VALU_DEP_2)
	v_fmac_f32_e32 v6, v2, v0
	v_fma_f32 v2, v0, v3, -v1
	s_delay_alu instid0(VALU_DEP_2) | instskip(NEXT) | instid1(VALU_DEP_2)
	v_cvt_f64_f32_e32 v[0:1], v6
	v_cvt_f64_f32_e32 v[2:3], v2
	s_delay_alu instid0(VALU_DEP_2) | instskip(NEXT) | instid1(VALU_DEP_2)
	v_mul_f64_e32 v[0:1], s[2:3], v[0:1]
	v_mul_f64_e32 v[2:3], s[2:3], v[2:3]
	s_delay_alu instid0(VALU_DEP_2) | instskip(NEXT) | instid1(VALU_DEP_2)
	v_cvt_f32_f64_e32 v0, v[0:1]
	v_cvt_f32_f64_e32 v1, v[2:3]
	global_store_b64 v[4:5], v[0:1], off
	global_load_b64 v[6:7], v[100:101], off offset:8480
	v_add_nc_u32_e32 v0, 0x2000, v129
	v_add_co_u32 v4, vcc_lo, v4, s6
	s_wait_alu 0xfffd
	v_add_co_ci_u32_e32 v5, vcc_lo, s7, v5, vcc_lo
	ds_load_2addr_b64 v[0:3], v0 offset0:36 offset1:196
	;; [unrolled: 42-line block ×3, first 2 shown]
	s_wait_loadcnt_dscnt 0x0
	v_mul_f32_e32 v8, v1, v7
	v_mul_f32_e32 v7, v0, v7
	s_delay_alu instid0(VALU_DEP_2) | instskip(NEXT) | instid1(VALU_DEP_2)
	v_fmac_f32_e32 v8, v0, v6
	v_fma_f32 v6, v6, v1, -v7
	s_delay_alu instid0(VALU_DEP_2) | instskip(NEXT) | instid1(VALU_DEP_2)
	v_cvt_f64_f32_e32 v[0:1], v8
	v_cvt_f64_f32_e32 v[6:7], v6
	s_delay_alu instid0(VALU_DEP_2) | instskip(NEXT) | instid1(VALU_DEP_2)
	v_mul_f64_e32 v[0:1], s[2:3], v[0:1]
	v_mul_f64_e32 v[6:7], s[2:3], v[6:7]
	s_delay_alu instid0(VALU_DEP_2) | instskip(NEXT) | instid1(VALU_DEP_2)
	v_cvt_f32_f64_e32 v0, v[0:1]
	v_cvt_f32_f64_e32 v1, v[6:7]
	global_store_b64 v[4:5], v[0:1], off
	global_load_b64 v[0:1], v[100:101], off offset:12320
	s_wait_loadcnt 0x0
	v_mul_f32_e32 v6, v3, v1
	v_mul_f32_e32 v1, v2, v1
	s_delay_alu instid0(VALU_DEP_2) | instskip(NEXT) | instid1(VALU_DEP_2)
	v_fmac_f32_e32 v6, v2, v0
	v_fma_f32 v2, v0, v3, -v1
	s_delay_alu instid0(VALU_DEP_2) | instskip(NEXT) | instid1(VALU_DEP_2)
	v_cvt_f64_f32_e32 v[0:1], v6
	v_cvt_f64_f32_e32 v[2:3], v2
	s_delay_alu instid0(VALU_DEP_2) | instskip(NEXT) | instid1(VALU_DEP_2)
	v_mul_f64_e32 v[0:1], s[2:3], v[0:1]
	v_mul_f64_e32 v[2:3], s[2:3], v[2:3]
	s_delay_alu instid0(VALU_DEP_2) | instskip(NEXT) | instid1(VALU_DEP_2)
	v_cvt_f32_f64_e32 v0, v[0:1]
	v_cvt_f32_f64_e32 v1, v[2:3]
	v_add_co_u32 v2, vcc_lo, v4, s6
	s_wait_alu 0xfffd
	v_add_co_ci_u32_e32 v3, vcc_lo, s7, v5, vcc_lo
	global_store_b64 v[2:3], v[0:1], off
.LBB0_23:
	s_nop 0
	s_sendmsg sendmsg(MSG_DEALLOC_VGPRS)
	s_endpgm
	.section	.rodata,"a",@progbits
	.p2align	6, 0x0
	.amdhsa_kernel bluestein_single_fwd_len1600_dim1_sp_op_CI_CI
		.amdhsa_group_segment_fixed_size 25600
		.amdhsa_private_segment_fixed_size 0
		.amdhsa_kernarg_size 104
		.amdhsa_user_sgpr_count 2
		.amdhsa_user_sgpr_dispatch_ptr 0
		.amdhsa_user_sgpr_queue_ptr 0
		.amdhsa_user_sgpr_kernarg_segment_ptr 1
		.amdhsa_user_sgpr_dispatch_id 0
		.amdhsa_user_sgpr_private_segment_size 0
		.amdhsa_wavefront_size32 1
		.amdhsa_uses_dynamic_stack 0
		.amdhsa_enable_private_segment 0
		.amdhsa_system_sgpr_workgroup_id_x 1
		.amdhsa_system_sgpr_workgroup_id_y 0
		.amdhsa_system_sgpr_workgroup_id_z 0
		.amdhsa_system_sgpr_workgroup_info 0
		.amdhsa_system_vgpr_workitem_id 0
		.amdhsa_next_free_vgpr 193
		.amdhsa_next_free_sgpr 18
		.amdhsa_reserve_vcc 1
		.amdhsa_float_round_mode_32 0
		.amdhsa_float_round_mode_16_64 0
		.amdhsa_float_denorm_mode_32 3
		.amdhsa_float_denorm_mode_16_64 3
		.amdhsa_fp16_overflow 0
		.amdhsa_workgroup_processor_mode 1
		.amdhsa_memory_ordered 1
		.amdhsa_forward_progress 0
		.amdhsa_round_robin_scheduling 0
		.amdhsa_exception_fp_ieee_invalid_op 0
		.amdhsa_exception_fp_denorm_src 0
		.amdhsa_exception_fp_ieee_div_zero 0
		.amdhsa_exception_fp_ieee_overflow 0
		.amdhsa_exception_fp_ieee_underflow 0
		.amdhsa_exception_fp_ieee_inexact 0
		.amdhsa_exception_int_div_zero 0
	.end_amdhsa_kernel
	.text
.Lfunc_end0:
	.size	bluestein_single_fwd_len1600_dim1_sp_op_CI_CI, .Lfunc_end0-bluestein_single_fwd_len1600_dim1_sp_op_CI_CI
                                        ; -- End function
	.section	.AMDGPU.csdata,"",@progbits
; Kernel info:
; codeLenInByte = 18588
; NumSgprs: 20
; NumVgprs: 193
; ScratchSize: 0
; MemoryBound: 0
; FloatMode: 240
; IeeeMode: 1
; LDSByteSize: 25600 bytes/workgroup (compile time only)
; SGPRBlocks: 2
; VGPRBlocks: 24
; NumSGPRsForWavesPerEU: 20
; NumVGPRsForWavesPerEU: 193
; Occupancy: 7
; WaveLimiterHint : 1
; COMPUTE_PGM_RSRC2:SCRATCH_EN: 0
; COMPUTE_PGM_RSRC2:USER_SGPR: 2
; COMPUTE_PGM_RSRC2:TRAP_HANDLER: 0
; COMPUTE_PGM_RSRC2:TGID_X_EN: 1
; COMPUTE_PGM_RSRC2:TGID_Y_EN: 0
; COMPUTE_PGM_RSRC2:TGID_Z_EN: 0
; COMPUTE_PGM_RSRC2:TIDIG_COMP_CNT: 0
	.text
	.p2alignl 7, 3214868480
	.fill 96, 4, 3214868480
	.type	__hip_cuid_5e4bf5c14360de20,@object ; @__hip_cuid_5e4bf5c14360de20
	.section	.bss,"aw",@nobits
	.globl	__hip_cuid_5e4bf5c14360de20
__hip_cuid_5e4bf5c14360de20:
	.byte	0                               ; 0x0
	.size	__hip_cuid_5e4bf5c14360de20, 1

	.ident	"AMD clang version 19.0.0git (https://github.com/RadeonOpenCompute/llvm-project roc-6.4.0 25133 c7fe45cf4b819c5991fe208aaa96edf142730f1d)"
	.section	".note.GNU-stack","",@progbits
	.addrsig
	.addrsig_sym __hip_cuid_5e4bf5c14360de20
	.amdgpu_metadata
---
amdhsa.kernels:
  - .args:
      - .actual_access:  read_only
        .address_space:  global
        .offset:         0
        .size:           8
        .value_kind:     global_buffer
      - .actual_access:  read_only
        .address_space:  global
        .offset:         8
        .size:           8
        .value_kind:     global_buffer
      - .actual_access:  read_only
        .address_space:  global
        .offset:         16
        .size:           8
        .value_kind:     global_buffer
      - .actual_access:  read_only
        .address_space:  global
        .offset:         24
        .size:           8
        .value_kind:     global_buffer
      - .actual_access:  read_only
        .address_space:  global
        .offset:         32
        .size:           8
        .value_kind:     global_buffer
      - .offset:         40
        .size:           8
        .value_kind:     by_value
      - .address_space:  global
        .offset:         48
        .size:           8
        .value_kind:     global_buffer
      - .address_space:  global
        .offset:         56
        .size:           8
        .value_kind:     global_buffer
      - .address_space:  global
        .offset:         64
        .size:           8
        .value_kind:     global_buffer
      - .address_space:  global
        .offset:         72
        .size:           8
        .value_kind:     global_buffer
      - .offset:         80
        .size:           4
        .value_kind:     by_value
      - .address_space:  global
        .offset:         88
        .size:           8
        .value_kind:     global_buffer
      - .address_space:  global
        .offset:         96
        .size:           8
        .value_kind:     global_buffer
    .group_segment_fixed_size: 25600
    .kernarg_segment_align: 8
    .kernarg_segment_size: 104
    .language:       OpenCL C
    .language_version:
      - 2
      - 0
    .max_flat_workgroup_size: 200
    .name:           bluestein_single_fwd_len1600_dim1_sp_op_CI_CI
    .private_segment_fixed_size: 0
    .sgpr_count:     20
    .sgpr_spill_count: 0
    .symbol:         bluestein_single_fwd_len1600_dim1_sp_op_CI_CI.kd
    .uniform_work_group_size: 1
    .uses_dynamic_stack: false
    .vgpr_count:     193
    .vgpr_spill_count: 0
    .wavefront_size: 32
    .workgroup_processor_mode: 1
amdhsa.target:   amdgcn-amd-amdhsa--gfx1201
amdhsa.version:
  - 1
  - 2
...

	.end_amdgpu_metadata
